;; amdgpu-corpus repo=ROCm/rocSPARSE kind=compiled arch=gfx90a opt=O3
	.text
	.amdgcn_target "amdgcn-amd-amdhsa--gfx90a"
	.amdhsa_code_object_version 6
	.section	.text._ZN9rocsparseL20coo2dense_aos_kernelILj512EiDF16_EEvT0_S1_ll21rocsparse_index_base_PKT1_PKS1_PS3_16rocsparse_order_,"axG",@progbits,_ZN9rocsparseL20coo2dense_aos_kernelILj512EiDF16_EEvT0_S1_ll21rocsparse_index_base_PKT1_PKS1_PS3_16rocsparse_order_,comdat
	.globl	_ZN9rocsparseL20coo2dense_aos_kernelILj512EiDF16_EEvT0_S1_ll21rocsparse_index_base_PKT1_PKS1_PS3_16rocsparse_order_ ; -- Begin function _ZN9rocsparseL20coo2dense_aos_kernelILj512EiDF16_EEvT0_S1_ll21rocsparse_index_base_PKT1_PKS1_PS3_16rocsparse_order_
	.p2align	8
	.type	_ZN9rocsparseL20coo2dense_aos_kernelILj512EiDF16_EEvT0_S1_ll21rocsparse_index_base_PKT1_PKS1_PS3_16rocsparse_order_,@function
_ZN9rocsparseL20coo2dense_aos_kernelILj512EiDF16_EEvT0_S1_ll21rocsparse_index_base_PKT1_PKS1_PS3_16rocsparse_order_: ; @_ZN9rocsparseL20coo2dense_aos_kernelILj512EiDF16_EEvT0_S1_ll21rocsparse_index_base_PKT1_PKS1_PS3_16rocsparse_order_
; %bb.0:
	s_load_dwordx4 s[8:11], s[4:5], 0x8
	v_lshl_or_b32 v2, s6, 9, v0
	v_mov_b32_e32 v3, 0
	s_waitcnt lgkmcnt(0)
	v_cmp_gt_i64_e32 vcc, s[8:9], v[2:3]
	s_and_saveexec_b64 s[0:1], vcc
	s_cbranch_execz .LBB0_3
; %bb.1:
	s_load_dword s0, s[4:5], 0x40
	s_load_dwordx2 s[2:3], s[4:5], 0x30
	s_load_dword s1, s[4:5], 0x38
	s_load_dword s7, s[4:5], 0x18
	s_load_dwordx4 s[12:15], s[4:5], 0x20
	v_lshlrev_b32_e32 v0, 1, v0
	s_waitcnt lgkmcnt(0)
	s_lshl_b32 s16, s0, 9
	v_pk_mov_b32 v[6:7], v[2:3], v[2:3] op_sel:[0,1]
	s_cmp_eq_u32 s1, 1
	s_cselect_b64 vcc, -1, 0
	v_add_u32_e32 v4, s16, v2
	v_lshl_or_b32 v2, s6, 10, v0
	s_lshl_b32 s6, s0, 10
	s_mov_b64 s[4:5], 0
	v_mov_b32_e32 v0, s15
	v_mov_b32_e32 v1, s13
	;; [unrolled: 1-line block ×3, first 2 shown]
.LBB0_2:                                ; =>This Inner Loop Header: Depth=1
	v_lshlrev_b64 v[10:11], 2, v[2:3]
	v_add_co_u32_e64 v10, s[0:1], s14, v10
	v_addc_co_u32_e64 v11, s[0:1], v0, v11, s[0:1]
	global_load_dwordx2 v[10:11], v[10:11], off
	v_lshlrev_b64 v[6:7], 1, v[6:7]
	v_add_co_u32_e64 v6, s[0:1], s12, v6
	v_addc_co_u32_e64 v7, s[0:1], v1, v7, s[0:1]
	global_load_ushort v9, v[6:7], off
	v_mov_b32_e32 v5, v3
	v_pk_mov_b32 v[6:7], v[4:5], v[4:5] op_sel:[0,1]
	v_cmp_le_u64_e64 s[0:1], s[8:9], v[4:5]
	s_or_b64 s[4:5], s[0:1], s[4:5]
	v_add_u32_e32 v2, s6, v2
	v_add_u32_e32 v4, s16, v4
	s_waitcnt vmcnt(1)
	v_subrev_u32_e32 v5, s7, v10
	v_subrev_u32_e32 v10, s7, v11
	v_cndmask_b32_e32 v11, v5, v10, vcc
	v_cndmask_b32_e32 v10, v10, v5, vcc
	v_ashrrev_i32_e32 v5, 31, v11
	v_mul_lo_u32 v14, v11, s11
	v_mad_u64_u32 v[12:13], s[0:1], v11, s10, 0
	v_mul_lo_u32 v5, v5, s10
	v_add3_u32 v13, v13, v14, v5
	v_lshlrev_b64 v[12:13], 1, v[12:13]
	v_ashrrev_i32_e32 v11, 31, v10
	v_add_co_u32_e64 v5, s[0:1], s2, v12
	v_lshlrev_b64 v[10:11], 1, v[10:11]
	v_addc_co_u32_e64 v12, s[0:1], v8, v13, s[0:1]
	v_add_co_u32_e64 v10, s[0:1], v5, v10
	v_addc_co_u32_e64 v11, s[0:1], v12, v11, s[0:1]
	s_waitcnt vmcnt(0)
	global_store_short v[10:11], v9, off
	s_andn2_b64 exec, exec, s[4:5]
	s_cbranch_execnz .LBB0_2
.LBB0_3:
	s_endpgm
	.section	.rodata,"a",@progbits
	.p2align	6, 0x0
	.amdhsa_kernel _ZN9rocsparseL20coo2dense_aos_kernelILj512EiDF16_EEvT0_S1_ll21rocsparse_index_base_PKT1_PKS1_PS3_16rocsparse_order_
		.amdhsa_group_segment_fixed_size 0
		.amdhsa_private_segment_fixed_size 0
		.amdhsa_kernarg_size 320
		.amdhsa_user_sgpr_count 6
		.amdhsa_user_sgpr_private_segment_buffer 1
		.amdhsa_user_sgpr_dispatch_ptr 0
		.amdhsa_user_sgpr_queue_ptr 0
		.amdhsa_user_sgpr_kernarg_segment_ptr 1
		.amdhsa_user_sgpr_dispatch_id 0
		.amdhsa_user_sgpr_flat_scratch_init 0
		.amdhsa_user_sgpr_kernarg_preload_length 0
		.amdhsa_user_sgpr_kernarg_preload_offset 0
		.amdhsa_user_sgpr_private_segment_size 0
		.amdhsa_uses_dynamic_stack 0
		.amdhsa_system_sgpr_private_segment_wavefront_offset 0
		.amdhsa_system_sgpr_workgroup_id_x 1
		.amdhsa_system_sgpr_workgroup_id_y 0
		.amdhsa_system_sgpr_workgroup_id_z 0
		.amdhsa_system_sgpr_workgroup_info 0
		.amdhsa_system_vgpr_workitem_id 0
		.amdhsa_next_free_vgpr 15
		.amdhsa_next_free_sgpr 17
		.amdhsa_accum_offset 16
		.amdhsa_reserve_vcc 1
		.amdhsa_reserve_flat_scratch 0
		.amdhsa_float_round_mode_32 0
		.amdhsa_float_round_mode_16_64 0
		.amdhsa_float_denorm_mode_32 3
		.amdhsa_float_denorm_mode_16_64 3
		.amdhsa_dx10_clamp 1
		.amdhsa_ieee_mode 1
		.amdhsa_fp16_overflow 0
		.amdhsa_tg_split 0
		.amdhsa_exception_fp_ieee_invalid_op 0
		.amdhsa_exception_fp_denorm_src 0
		.amdhsa_exception_fp_ieee_div_zero 0
		.amdhsa_exception_fp_ieee_overflow 0
		.amdhsa_exception_fp_ieee_underflow 0
		.amdhsa_exception_fp_ieee_inexact 0
		.amdhsa_exception_int_div_zero 0
	.end_amdhsa_kernel
	.section	.text._ZN9rocsparseL20coo2dense_aos_kernelILj512EiDF16_EEvT0_S1_ll21rocsparse_index_base_PKT1_PKS1_PS3_16rocsparse_order_,"axG",@progbits,_ZN9rocsparseL20coo2dense_aos_kernelILj512EiDF16_EEvT0_S1_ll21rocsparse_index_base_PKT1_PKS1_PS3_16rocsparse_order_,comdat
.Lfunc_end0:
	.size	_ZN9rocsparseL20coo2dense_aos_kernelILj512EiDF16_EEvT0_S1_ll21rocsparse_index_base_PKT1_PKS1_PS3_16rocsparse_order_, .Lfunc_end0-_ZN9rocsparseL20coo2dense_aos_kernelILj512EiDF16_EEvT0_S1_ll21rocsparse_index_base_PKT1_PKS1_PS3_16rocsparse_order_
                                        ; -- End function
	.section	.AMDGPU.csdata,"",@progbits
; Kernel info:
; codeLenInByte = 364
; NumSgprs: 21
; NumVgprs: 15
; NumAgprs: 0
; TotalNumVgprs: 15
; ScratchSize: 0
; MemoryBound: 0
; FloatMode: 240
; IeeeMode: 1
; LDSByteSize: 0 bytes/workgroup (compile time only)
; SGPRBlocks: 2
; VGPRBlocks: 1
; NumSGPRsForWavesPerEU: 21
; NumVGPRsForWavesPerEU: 15
; AccumOffset: 16
; Occupancy: 8
; WaveLimiterHint : 1
; COMPUTE_PGM_RSRC2:SCRATCH_EN: 0
; COMPUTE_PGM_RSRC2:USER_SGPR: 6
; COMPUTE_PGM_RSRC2:TRAP_HANDLER: 0
; COMPUTE_PGM_RSRC2:TGID_X_EN: 1
; COMPUTE_PGM_RSRC2:TGID_Y_EN: 0
; COMPUTE_PGM_RSRC2:TGID_Z_EN: 0
; COMPUTE_PGM_RSRC2:TIDIG_COMP_CNT: 0
; COMPUTE_PGM_RSRC3_GFX90A:ACCUM_OFFSET: 3
; COMPUTE_PGM_RSRC3_GFX90A:TG_SPLIT: 0
	.section	.text._ZN9rocsparseL20coo2dense_aos_kernelILj512EifEEvT0_S1_ll21rocsparse_index_base_PKT1_PKS1_PS3_16rocsparse_order_,"axG",@progbits,_ZN9rocsparseL20coo2dense_aos_kernelILj512EifEEvT0_S1_ll21rocsparse_index_base_PKT1_PKS1_PS3_16rocsparse_order_,comdat
	.globl	_ZN9rocsparseL20coo2dense_aos_kernelILj512EifEEvT0_S1_ll21rocsparse_index_base_PKT1_PKS1_PS3_16rocsparse_order_ ; -- Begin function _ZN9rocsparseL20coo2dense_aos_kernelILj512EifEEvT0_S1_ll21rocsparse_index_base_PKT1_PKS1_PS3_16rocsparse_order_
	.p2align	8
	.type	_ZN9rocsparseL20coo2dense_aos_kernelILj512EifEEvT0_S1_ll21rocsparse_index_base_PKT1_PKS1_PS3_16rocsparse_order_,@function
_ZN9rocsparseL20coo2dense_aos_kernelILj512EifEEvT0_S1_ll21rocsparse_index_base_PKT1_PKS1_PS3_16rocsparse_order_: ; @_ZN9rocsparseL20coo2dense_aos_kernelILj512EifEEvT0_S1_ll21rocsparse_index_base_PKT1_PKS1_PS3_16rocsparse_order_
; %bb.0:
	s_load_dwordx4 s[8:11], s[4:5], 0x8
	v_lshl_or_b32 v2, s6, 9, v0
	v_mov_b32_e32 v3, 0
	s_waitcnt lgkmcnt(0)
	v_cmp_gt_i64_e32 vcc, s[8:9], v[2:3]
	s_and_saveexec_b64 s[0:1], vcc
	s_cbranch_execz .LBB1_3
; %bb.1:
	s_load_dword s0, s[4:5], 0x40
	s_load_dwordx2 s[2:3], s[4:5], 0x30
	s_load_dword s1, s[4:5], 0x38
	s_load_dword s7, s[4:5], 0x18
	s_load_dwordx4 s[12:15], s[4:5], 0x20
	v_lshlrev_b32_e32 v0, 1, v0
	s_waitcnt lgkmcnt(0)
	s_lshl_b32 s16, s0, 9
	v_pk_mov_b32 v[6:7], v[2:3], v[2:3] op_sel:[0,1]
	s_cmp_eq_u32 s1, 1
	s_cselect_b64 vcc, -1, 0
	v_add_u32_e32 v4, s16, v2
	v_lshl_or_b32 v2, s6, 10, v0
	s_lshl_b32 s6, s0, 10
	s_mov_b64 s[4:5], 0
	v_mov_b32_e32 v0, s15
	v_mov_b32_e32 v1, s13
	;; [unrolled: 1-line block ×3, first 2 shown]
.LBB1_2:                                ; =>This Inner Loop Header: Depth=1
	v_lshlrev_b64 v[10:11], 2, v[2:3]
	v_add_co_u32_e64 v10, s[0:1], s14, v10
	v_addc_co_u32_e64 v11, s[0:1], v0, v11, s[0:1]
	global_load_dwordx2 v[10:11], v[10:11], off
	v_lshlrev_b64 v[6:7], 2, v[6:7]
	v_add_co_u32_e64 v6, s[0:1], s12, v6
	v_addc_co_u32_e64 v7, s[0:1], v1, v7, s[0:1]
	global_load_dword v9, v[6:7], off
	v_mov_b32_e32 v5, v3
	v_pk_mov_b32 v[6:7], v[4:5], v[4:5] op_sel:[0,1]
	v_cmp_le_u64_e64 s[0:1], s[8:9], v[4:5]
	s_or_b64 s[4:5], s[0:1], s[4:5]
	v_add_u32_e32 v2, s6, v2
	v_add_u32_e32 v4, s16, v4
	s_waitcnt vmcnt(1)
	v_subrev_u32_e32 v5, s7, v10
	v_subrev_u32_e32 v10, s7, v11
	v_cndmask_b32_e32 v11, v5, v10, vcc
	v_cndmask_b32_e32 v10, v10, v5, vcc
	v_ashrrev_i32_e32 v5, 31, v11
	v_mul_lo_u32 v14, v11, s11
	v_mad_u64_u32 v[12:13], s[0:1], v11, s10, 0
	v_mul_lo_u32 v5, v5, s10
	v_add3_u32 v13, v13, v14, v5
	v_lshlrev_b64 v[12:13], 2, v[12:13]
	v_ashrrev_i32_e32 v11, 31, v10
	v_add_co_u32_e64 v5, s[0:1], s2, v12
	v_lshlrev_b64 v[10:11], 2, v[10:11]
	v_addc_co_u32_e64 v12, s[0:1], v8, v13, s[0:1]
	v_add_co_u32_e64 v10, s[0:1], v5, v10
	v_addc_co_u32_e64 v11, s[0:1], v12, v11, s[0:1]
	s_waitcnt vmcnt(0)
	global_store_dword v[10:11], v9, off
	s_andn2_b64 exec, exec, s[4:5]
	s_cbranch_execnz .LBB1_2
.LBB1_3:
	s_endpgm
	.section	.rodata,"a",@progbits
	.p2align	6, 0x0
	.amdhsa_kernel _ZN9rocsparseL20coo2dense_aos_kernelILj512EifEEvT0_S1_ll21rocsparse_index_base_PKT1_PKS1_PS3_16rocsparse_order_
		.amdhsa_group_segment_fixed_size 0
		.amdhsa_private_segment_fixed_size 0
		.amdhsa_kernarg_size 320
		.amdhsa_user_sgpr_count 6
		.amdhsa_user_sgpr_private_segment_buffer 1
		.amdhsa_user_sgpr_dispatch_ptr 0
		.amdhsa_user_sgpr_queue_ptr 0
		.amdhsa_user_sgpr_kernarg_segment_ptr 1
		.amdhsa_user_sgpr_dispatch_id 0
		.amdhsa_user_sgpr_flat_scratch_init 0
		.amdhsa_user_sgpr_kernarg_preload_length 0
		.amdhsa_user_sgpr_kernarg_preload_offset 0
		.amdhsa_user_sgpr_private_segment_size 0
		.amdhsa_uses_dynamic_stack 0
		.amdhsa_system_sgpr_private_segment_wavefront_offset 0
		.amdhsa_system_sgpr_workgroup_id_x 1
		.amdhsa_system_sgpr_workgroup_id_y 0
		.amdhsa_system_sgpr_workgroup_id_z 0
		.amdhsa_system_sgpr_workgroup_info 0
		.amdhsa_system_vgpr_workitem_id 0
		.amdhsa_next_free_vgpr 15
		.amdhsa_next_free_sgpr 17
		.amdhsa_accum_offset 16
		.amdhsa_reserve_vcc 1
		.amdhsa_reserve_flat_scratch 0
		.amdhsa_float_round_mode_32 0
		.amdhsa_float_round_mode_16_64 0
		.amdhsa_float_denorm_mode_32 3
		.amdhsa_float_denorm_mode_16_64 3
		.amdhsa_dx10_clamp 1
		.amdhsa_ieee_mode 1
		.amdhsa_fp16_overflow 0
		.amdhsa_tg_split 0
		.amdhsa_exception_fp_ieee_invalid_op 0
		.amdhsa_exception_fp_denorm_src 0
		.amdhsa_exception_fp_ieee_div_zero 0
		.amdhsa_exception_fp_ieee_overflow 0
		.amdhsa_exception_fp_ieee_underflow 0
		.amdhsa_exception_fp_ieee_inexact 0
		.amdhsa_exception_int_div_zero 0
	.end_amdhsa_kernel
	.section	.text._ZN9rocsparseL20coo2dense_aos_kernelILj512EifEEvT0_S1_ll21rocsparse_index_base_PKT1_PKS1_PS3_16rocsparse_order_,"axG",@progbits,_ZN9rocsparseL20coo2dense_aos_kernelILj512EifEEvT0_S1_ll21rocsparse_index_base_PKT1_PKS1_PS3_16rocsparse_order_,comdat
.Lfunc_end1:
	.size	_ZN9rocsparseL20coo2dense_aos_kernelILj512EifEEvT0_S1_ll21rocsparse_index_base_PKT1_PKS1_PS3_16rocsparse_order_, .Lfunc_end1-_ZN9rocsparseL20coo2dense_aos_kernelILj512EifEEvT0_S1_ll21rocsparse_index_base_PKT1_PKS1_PS3_16rocsparse_order_
                                        ; -- End function
	.section	.AMDGPU.csdata,"",@progbits
; Kernel info:
; codeLenInByte = 364
; NumSgprs: 21
; NumVgprs: 15
; NumAgprs: 0
; TotalNumVgprs: 15
; ScratchSize: 0
; MemoryBound: 0
; FloatMode: 240
; IeeeMode: 1
; LDSByteSize: 0 bytes/workgroup (compile time only)
; SGPRBlocks: 2
; VGPRBlocks: 1
; NumSGPRsForWavesPerEU: 21
; NumVGPRsForWavesPerEU: 15
; AccumOffset: 16
; Occupancy: 8
; WaveLimiterHint : 1
; COMPUTE_PGM_RSRC2:SCRATCH_EN: 0
; COMPUTE_PGM_RSRC2:USER_SGPR: 6
; COMPUTE_PGM_RSRC2:TRAP_HANDLER: 0
; COMPUTE_PGM_RSRC2:TGID_X_EN: 1
; COMPUTE_PGM_RSRC2:TGID_Y_EN: 0
; COMPUTE_PGM_RSRC2:TGID_Z_EN: 0
; COMPUTE_PGM_RSRC2:TIDIG_COMP_CNT: 0
; COMPUTE_PGM_RSRC3_GFX90A:ACCUM_OFFSET: 3
; COMPUTE_PGM_RSRC3_GFX90A:TG_SPLIT: 0
	.section	.text._ZN9rocsparseL20coo2dense_aos_kernelILj512EidEEvT0_S1_ll21rocsparse_index_base_PKT1_PKS1_PS3_16rocsparse_order_,"axG",@progbits,_ZN9rocsparseL20coo2dense_aos_kernelILj512EidEEvT0_S1_ll21rocsparse_index_base_PKT1_PKS1_PS3_16rocsparse_order_,comdat
	.globl	_ZN9rocsparseL20coo2dense_aos_kernelILj512EidEEvT0_S1_ll21rocsparse_index_base_PKT1_PKS1_PS3_16rocsparse_order_ ; -- Begin function _ZN9rocsparseL20coo2dense_aos_kernelILj512EidEEvT0_S1_ll21rocsparse_index_base_PKT1_PKS1_PS3_16rocsparse_order_
	.p2align	8
	.type	_ZN9rocsparseL20coo2dense_aos_kernelILj512EidEEvT0_S1_ll21rocsparse_index_base_PKT1_PKS1_PS3_16rocsparse_order_,@function
_ZN9rocsparseL20coo2dense_aos_kernelILj512EidEEvT0_S1_ll21rocsparse_index_base_PKT1_PKS1_PS3_16rocsparse_order_: ; @_ZN9rocsparseL20coo2dense_aos_kernelILj512EidEEvT0_S1_ll21rocsparse_index_base_PKT1_PKS1_PS3_16rocsparse_order_
; %bb.0:
	s_load_dwordx4 s[8:11], s[4:5], 0x8
	v_lshl_or_b32 v2, s6, 9, v0
	v_mov_b32_e32 v3, 0
	s_waitcnt lgkmcnt(0)
	v_cmp_gt_i64_e32 vcc, s[8:9], v[2:3]
	s_and_saveexec_b64 s[0:1], vcc
	s_cbranch_execz .LBB2_3
; %bb.1:
	s_load_dword s0, s[4:5], 0x40
	s_load_dwordx2 s[2:3], s[4:5], 0x30
	s_load_dword s1, s[4:5], 0x38
	s_load_dword s7, s[4:5], 0x18
	s_load_dwordx4 s[12:15], s[4:5], 0x20
	v_lshlrev_b32_e32 v0, 1, v0
	s_waitcnt lgkmcnt(0)
	s_lshl_b32 s16, s0, 9
	v_pk_mov_b32 v[6:7], v[2:3], v[2:3] op_sel:[0,1]
	s_cmp_eq_u32 s1, 1
	s_cselect_b64 vcc, -1, 0
	v_add_u32_e32 v4, s16, v2
	v_lshl_or_b32 v2, s6, 10, v0
	s_lshl_b32 s6, s0, 10
	s_mov_b64 s[4:5], 0
	v_mov_b32_e32 v0, s15
	v_mov_b32_e32 v1, s13
	;; [unrolled: 1-line block ×3, first 2 shown]
.LBB2_2:                                ; =>This Inner Loop Header: Depth=1
	v_lshlrev_b64 v[10:11], 2, v[2:3]
	v_add_co_u32_e64 v10, s[0:1], s14, v10
	v_addc_co_u32_e64 v11, s[0:1], v0, v11, s[0:1]
	global_load_dwordx2 v[10:11], v[10:11], off
	v_lshlrev_b64 v[6:7], 3, v[6:7]
	v_add_co_u32_e64 v6, s[0:1], s12, v6
	v_addc_co_u32_e64 v7, s[0:1], v1, v7, s[0:1]
	global_load_dwordx2 v[12:13], v[6:7], off
	v_mov_b32_e32 v5, v3
	v_pk_mov_b32 v[6:7], v[4:5], v[4:5] op_sel:[0,1]
	v_cmp_le_u64_e64 s[0:1], s[8:9], v[4:5]
	s_or_b64 s[4:5], s[0:1], s[4:5]
	v_add_u32_e32 v2, s6, v2
	v_add_u32_e32 v4, s16, v4
	s_waitcnt vmcnt(1)
	v_subrev_u32_e32 v5, s7, v10
	v_subrev_u32_e32 v9, s7, v11
	v_cndmask_b32_e32 v11, v5, v9, vcc
	v_cndmask_b32_e32 v10, v9, v5, vcc
	v_ashrrev_i32_e32 v5, 31, v11
	v_mul_lo_u32 v9, v11, s11
	v_mad_u64_u32 v[14:15], s[0:1], v11, s10, 0
	v_mul_lo_u32 v5, v5, s10
	v_add3_u32 v15, v15, v9, v5
	v_lshlrev_b64 v[14:15], 3, v[14:15]
	v_ashrrev_i32_e32 v11, 31, v10
	v_add_co_u32_e64 v5, s[0:1], s2, v14
	v_lshlrev_b64 v[10:11], 3, v[10:11]
	v_addc_co_u32_e64 v9, s[0:1], v8, v15, s[0:1]
	v_add_co_u32_e64 v10, s[0:1], v5, v10
	v_addc_co_u32_e64 v11, s[0:1], v9, v11, s[0:1]
	s_waitcnt vmcnt(0)
	global_store_dwordx2 v[10:11], v[12:13], off
	s_andn2_b64 exec, exec, s[4:5]
	s_cbranch_execnz .LBB2_2
.LBB2_3:
	s_endpgm
	.section	.rodata,"a",@progbits
	.p2align	6, 0x0
	.amdhsa_kernel _ZN9rocsparseL20coo2dense_aos_kernelILj512EidEEvT0_S1_ll21rocsparse_index_base_PKT1_PKS1_PS3_16rocsparse_order_
		.amdhsa_group_segment_fixed_size 0
		.amdhsa_private_segment_fixed_size 0
		.amdhsa_kernarg_size 320
		.amdhsa_user_sgpr_count 6
		.amdhsa_user_sgpr_private_segment_buffer 1
		.amdhsa_user_sgpr_dispatch_ptr 0
		.amdhsa_user_sgpr_queue_ptr 0
		.amdhsa_user_sgpr_kernarg_segment_ptr 1
		.amdhsa_user_sgpr_dispatch_id 0
		.amdhsa_user_sgpr_flat_scratch_init 0
		.amdhsa_user_sgpr_kernarg_preload_length 0
		.amdhsa_user_sgpr_kernarg_preload_offset 0
		.amdhsa_user_sgpr_private_segment_size 0
		.amdhsa_uses_dynamic_stack 0
		.amdhsa_system_sgpr_private_segment_wavefront_offset 0
		.amdhsa_system_sgpr_workgroup_id_x 1
		.amdhsa_system_sgpr_workgroup_id_y 0
		.amdhsa_system_sgpr_workgroup_id_z 0
		.amdhsa_system_sgpr_workgroup_info 0
		.amdhsa_system_vgpr_workitem_id 0
		.amdhsa_next_free_vgpr 16
		.amdhsa_next_free_sgpr 17
		.amdhsa_accum_offset 16
		.amdhsa_reserve_vcc 1
		.amdhsa_reserve_flat_scratch 0
		.amdhsa_float_round_mode_32 0
		.amdhsa_float_round_mode_16_64 0
		.amdhsa_float_denorm_mode_32 3
		.amdhsa_float_denorm_mode_16_64 3
		.amdhsa_dx10_clamp 1
		.amdhsa_ieee_mode 1
		.amdhsa_fp16_overflow 0
		.amdhsa_tg_split 0
		.amdhsa_exception_fp_ieee_invalid_op 0
		.amdhsa_exception_fp_denorm_src 0
		.amdhsa_exception_fp_ieee_div_zero 0
		.amdhsa_exception_fp_ieee_overflow 0
		.amdhsa_exception_fp_ieee_underflow 0
		.amdhsa_exception_fp_ieee_inexact 0
		.amdhsa_exception_int_div_zero 0
	.end_amdhsa_kernel
	.section	.text._ZN9rocsparseL20coo2dense_aos_kernelILj512EidEEvT0_S1_ll21rocsparse_index_base_PKT1_PKS1_PS3_16rocsparse_order_,"axG",@progbits,_ZN9rocsparseL20coo2dense_aos_kernelILj512EidEEvT0_S1_ll21rocsparse_index_base_PKT1_PKS1_PS3_16rocsparse_order_,comdat
.Lfunc_end2:
	.size	_ZN9rocsparseL20coo2dense_aos_kernelILj512EidEEvT0_S1_ll21rocsparse_index_base_PKT1_PKS1_PS3_16rocsparse_order_, .Lfunc_end2-_ZN9rocsparseL20coo2dense_aos_kernelILj512EidEEvT0_S1_ll21rocsparse_index_base_PKT1_PKS1_PS3_16rocsparse_order_
                                        ; -- End function
	.section	.AMDGPU.csdata,"",@progbits
; Kernel info:
; codeLenInByte = 364
; NumSgprs: 21
; NumVgprs: 16
; NumAgprs: 0
; TotalNumVgprs: 16
; ScratchSize: 0
; MemoryBound: 0
; FloatMode: 240
; IeeeMode: 1
; LDSByteSize: 0 bytes/workgroup (compile time only)
; SGPRBlocks: 2
; VGPRBlocks: 1
; NumSGPRsForWavesPerEU: 21
; NumVGPRsForWavesPerEU: 16
; AccumOffset: 16
; Occupancy: 8
; WaveLimiterHint : 1
; COMPUTE_PGM_RSRC2:SCRATCH_EN: 0
; COMPUTE_PGM_RSRC2:USER_SGPR: 6
; COMPUTE_PGM_RSRC2:TRAP_HANDLER: 0
; COMPUTE_PGM_RSRC2:TGID_X_EN: 1
; COMPUTE_PGM_RSRC2:TGID_Y_EN: 0
; COMPUTE_PGM_RSRC2:TGID_Z_EN: 0
; COMPUTE_PGM_RSRC2:TIDIG_COMP_CNT: 0
; COMPUTE_PGM_RSRC3_GFX90A:ACCUM_OFFSET: 3
; COMPUTE_PGM_RSRC3_GFX90A:TG_SPLIT: 0
	.section	.text._ZN9rocsparseL20coo2dense_aos_kernelILj512Ei21rocsparse_complex_numIfEEEvT0_S3_ll21rocsparse_index_base_PKT1_PKS3_PS5_16rocsparse_order_,"axG",@progbits,_ZN9rocsparseL20coo2dense_aos_kernelILj512Ei21rocsparse_complex_numIfEEEvT0_S3_ll21rocsparse_index_base_PKT1_PKS3_PS5_16rocsparse_order_,comdat
	.globl	_ZN9rocsparseL20coo2dense_aos_kernelILj512Ei21rocsparse_complex_numIfEEEvT0_S3_ll21rocsparse_index_base_PKT1_PKS3_PS5_16rocsparse_order_ ; -- Begin function _ZN9rocsparseL20coo2dense_aos_kernelILj512Ei21rocsparse_complex_numIfEEEvT0_S3_ll21rocsparse_index_base_PKT1_PKS3_PS5_16rocsparse_order_
	.p2align	8
	.type	_ZN9rocsparseL20coo2dense_aos_kernelILj512Ei21rocsparse_complex_numIfEEEvT0_S3_ll21rocsparse_index_base_PKT1_PKS3_PS5_16rocsparse_order_,@function
_ZN9rocsparseL20coo2dense_aos_kernelILj512Ei21rocsparse_complex_numIfEEEvT0_S3_ll21rocsparse_index_base_PKT1_PKS3_PS5_16rocsparse_order_: ; @_ZN9rocsparseL20coo2dense_aos_kernelILj512Ei21rocsparse_complex_numIfEEEvT0_S3_ll21rocsparse_index_base_PKT1_PKS3_PS5_16rocsparse_order_
; %bb.0:
	s_load_dwordx4 s[8:11], s[4:5], 0x8
	v_lshl_or_b32 v2, s6, 9, v0
	v_mov_b32_e32 v3, 0
	s_waitcnt lgkmcnt(0)
	v_cmp_gt_i64_e32 vcc, s[8:9], v[2:3]
	s_and_saveexec_b64 s[0:1], vcc
	s_cbranch_execz .LBB3_3
; %bb.1:
	s_load_dword s0, s[4:5], 0x40
	s_load_dwordx2 s[2:3], s[4:5], 0x30
	s_load_dword s1, s[4:5], 0x38
	s_load_dword s7, s[4:5], 0x18
	s_load_dwordx4 s[12:15], s[4:5], 0x20
	v_lshlrev_b32_e32 v0, 1, v0
	s_waitcnt lgkmcnt(0)
	s_lshl_b32 s16, s0, 9
	v_pk_mov_b32 v[6:7], v[2:3], v[2:3] op_sel:[0,1]
	s_cmp_eq_u32 s1, 1
	s_cselect_b64 vcc, -1, 0
	v_add_u32_e32 v4, s16, v2
	v_lshl_or_b32 v2, s6, 10, v0
	s_lshl_b32 s6, s0, 10
	s_mov_b64 s[4:5], 0
	v_mov_b32_e32 v0, s15
	v_mov_b32_e32 v1, s13
	;; [unrolled: 1-line block ×3, first 2 shown]
.LBB3_2:                                ; =>This Inner Loop Header: Depth=1
	v_lshlrev_b64 v[10:11], 2, v[2:3]
	v_add_co_u32_e64 v10, s[0:1], s14, v10
	v_addc_co_u32_e64 v11, s[0:1], v0, v11, s[0:1]
	global_load_dwordx2 v[10:11], v[10:11], off
	v_lshlrev_b64 v[6:7], 3, v[6:7]
	v_add_co_u32_e64 v6, s[0:1], s12, v6
	v_addc_co_u32_e64 v7, s[0:1], v1, v7, s[0:1]
	global_load_dwordx2 v[12:13], v[6:7], off
	v_mov_b32_e32 v5, v3
	v_pk_mov_b32 v[6:7], v[4:5], v[4:5] op_sel:[0,1]
	v_cmp_le_u64_e64 s[0:1], s[8:9], v[4:5]
	s_or_b64 s[4:5], s[0:1], s[4:5]
	v_add_u32_e32 v2, s6, v2
	v_add_u32_e32 v4, s16, v4
	s_waitcnt vmcnt(1)
	v_subrev_u32_e32 v5, s7, v10
	v_subrev_u32_e32 v9, s7, v11
	v_cndmask_b32_e32 v11, v5, v9, vcc
	v_cndmask_b32_e32 v10, v9, v5, vcc
	v_ashrrev_i32_e32 v5, 31, v11
	v_mul_lo_u32 v9, v11, s11
	v_mad_u64_u32 v[14:15], s[0:1], v11, s10, 0
	v_mul_lo_u32 v5, v5, s10
	v_add3_u32 v15, v15, v9, v5
	v_lshlrev_b64 v[14:15], 3, v[14:15]
	v_ashrrev_i32_e32 v11, 31, v10
	v_add_co_u32_e64 v5, s[0:1], s2, v14
	v_lshlrev_b64 v[10:11], 3, v[10:11]
	v_addc_co_u32_e64 v9, s[0:1], v8, v15, s[0:1]
	v_add_co_u32_e64 v10, s[0:1], v5, v10
	v_addc_co_u32_e64 v11, s[0:1], v9, v11, s[0:1]
	s_waitcnt vmcnt(0)
	global_store_dwordx2 v[10:11], v[12:13], off
	s_andn2_b64 exec, exec, s[4:5]
	s_cbranch_execnz .LBB3_2
.LBB3_3:
	s_endpgm
	.section	.rodata,"a",@progbits
	.p2align	6, 0x0
	.amdhsa_kernel _ZN9rocsparseL20coo2dense_aos_kernelILj512Ei21rocsparse_complex_numIfEEEvT0_S3_ll21rocsparse_index_base_PKT1_PKS3_PS5_16rocsparse_order_
		.amdhsa_group_segment_fixed_size 0
		.amdhsa_private_segment_fixed_size 0
		.amdhsa_kernarg_size 320
		.amdhsa_user_sgpr_count 6
		.amdhsa_user_sgpr_private_segment_buffer 1
		.amdhsa_user_sgpr_dispatch_ptr 0
		.amdhsa_user_sgpr_queue_ptr 0
		.amdhsa_user_sgpr_kernarg_segment_ptr 1
		.amdhsa_user_sgpr_dispatch_id 0
		.amdhsa_user_sgpr_flat_scratch_init 0
		.amdhsa_user_sgpr_kernarg_preload_length 0
		.amdhsa_user_sgpr_kernarg_preload_offset 0
		.amdhsa_user_sgpr_private_segment_size 0
		.amdhsa_uses_dynamic_stack 0
		.amdhsa_system_sgpr_private_segment_wavefront_offset 0
		.amdhsa_system_sgpr_workgroup_id_x 1
		.amdhsa_system_sgpr_workgroup_id_y 0
		.amdhsa_system_sgpr_workgroup_id_z 0
		.amdhsa_system_sgpr_workgroup_info 0
		.amdhsa_system_vgpr_workitem_id 0
		.amdhsa_next_free_vgpr 16
		.amdhsa_next_free_sgpr 17
		.amdhsa_accum_offset 16
		.amdhsa_reserve_vcc 1
		.amdhsa_reserve_flat_scratch 0
		.amdhsa_float_round_mode_32 0
		.amdhsa_float_round_mode_16_64 0
		.amdhsa_float_denorm_mode_32 3
		.amdhsa_float_denorm_mode_16_64 3
		.amdhsa_dx10_clamp 1
		.amdhsa_ieee_mode 1
		.amdhsa_fp16_overflow 0
		.amdhsa_tg_split 0
		.amdhsa_exception_fp_ieee_invalid_op 0
		.amdhsa_exception_fp_denorm_src 0
		.amdhsa_exception_fp_ieee_div_zero 0
		.amdhsa_exception_fp_ieee_overflow 0
		.amdhsa_exception_fp_ieee_underflow 0
		.amdhsa_exception_fp_ieee_inexact 0
		.amdhsa_exception_int_div_zero 0
	.end_amdhsa_kernel
	.section	.text._ZN9rocsparseL20coo2dense_aos_kernelILj512Ei21rocsparse_complex_numIfEEEvT0_S3_ll21rocsparse_index_base_PKT1_PKS3_PS5_16rocsparse_order_,"axG",@progbits,_ZN9rocsparseL20coo2dense_aos_kernelILj512Ei21rocsparse_complex_numIfEEEvT0_S3_ll21rocsparse_index_base_PKT1_PKS3_PS5_16rocsparse_order_,comdat
.Lfunc_end3:
	.size	_ZN9rocsparseL20coo2dense_aos_kernelILj512Ei21rocsparse_complex_numIfEEEvT0_S3_ll21rocsparse_index_base_PKT1_PKS3_PS5_16rocsparse_order_, .Lfunc_end3-_ZN9rocsparseL20coo2dense_aos_kernelILj512Ei21rocsparse_complex_numIfEEEvT0_S3_ll21rocsparse_index_base_PKT1_PKS3_PS5_16rocsparse_order_
                                        ; -- End function
	.section	.AMDGPU.csdata,"",@progbits
; Kernel info:
; codeLenInByte = 364
; NumSgprs: 21
; NumVgprs: 16
; NumAgprs: 0
; TotalNumVgprs: 16
; ScratchSize: 0
; MemoryBound: 0
; FloatMode: 240
; IeeeMode: 1
; LDSByteSize: 0 bytes/workgroup (compile time only)
; SGPRBlocks: 2
; VGPRBlocks: 1
; NumSGPRsForWavesPerEU: 21
; NumVGPRsForWavesPerEU: 16
; AccumOffset: 16
; Occupancy: 8
; WaveLimiterHint : 1
; COMPUTE_PGM_RSRC2:SCRATCH_EN: 0
; COMPUTE_PGM_RSRC2:USER_SGPR: 6
; COMPUTE_PGM_RSRC2:TRAP_HANDLER: 0
; COMPUTE_PGM_RSRC2:TGID_X_EN: 1
; COMPUTE_PGM_RSRC2:TGID_Y_EN: 0
; COMPUTE_PGM_RSRC2:TGID_Z_EN: 0
; COMPUTE_PGM_RSRC2:TIDIG_COMP_CNT: 0
; COMPUTE_PGM_RSRC3_GFX90A:ACCUM_OFFSET: 3
; COMPUTE_PGM_RSRC3_GFX90A:TG_SPLIT: 0
	.section	.text._ZN9rocsparseL20coo2dense_aos_kernelILj512Ei21rocsparse_complex_numIdEEEvT0_S3_ll21rocsparse_index_base_PKT1_PKS3_PS5_16rocsparse_order_,"axG",@progbits,_ZN9rocsparseL20coo2dense_aos_kernelILj512Ei21rocsparse_complex_numIdEEEvT0_S3_ll21rocsparse_index_base_PKT1_PKS3_PS5_16rocsparse_order_,comdat
	.globl	_ZN9rocsparseL20coo2dense_aos_kernelILj512Ei21rocsparse_complex_numIdEEEvT0_S3_ll21rocsparse_index_base_PKT1_PKS3_PS5_16rocsparse_order_ ; -- Begin function _ZN9rocsparseL20coo2dense_aos_kernelILj512Ei21rocsparse_complex_numIdEEEvT0_S3_ll21rocsparse_index_base_PKT1_PKS3_PS5_16rocsparse_order_
	.p2align	8
	.type	_ZN9rocsparseL20coo2dense_aos_kernelILj512Ei21rocsparse_complex_numIdEEEvT0_S3_ll21rocsparse_index_base_PKT1_PKS3_PS5_16rocsparse_order_,@function
_ZN9rocsparseL20coo2dense_aos_kernelILj512Ei21rocsparse_complex_numIdEEEvT0_S3_ll21rocsparse_index_base_PKT1_PKS3_PS5_16rocsparse_order_: ; @_ZN9rocsparseL20coo2dense_aos_kernelILj512Ei21rocsparse_complex_numIdEEEvT0_S3_ll21rocsparse_index_base_PKT1_PKS3_PS5_16rocsparse_order_
; %bb.0:
	s_load_dwordx4 s[8:11], s[4:5], 0x8
	v_lshl_or_b32 v2, s6, 9, v0
	v_mov_b32_e32 v3, 0
	s_waitcnt lgkmcnt(0)
	v_cmp_gt_i64_e32 vcc, s[8:9], v[2:3]
	s_and_saveexec_b64 s[0:1], vcc
	s_cbranch_execz .LBB4_3
; %bb.1:
	s_load_dword s0, s[4:5], 0x40
	s_load_dwordx2 s[2:3], s[4:5], 0x30
	s_load_dword s1, s[4:5], 0x38
	s_load_dword s7, s[4:5], 0x18
	s_load_dwordx4 s[12:15], s[4:5], 0x20
	v_lshlrev_b32_e32 v0, 1, v0
	s_waitcnt lgkmcnt(0)
	s_lshl_b32 s16, s0, 9
	v_pk_mov_b32 v[6:7], v[2:3], v[2:3] op_sel:[0,1]
	s_cmp_eq_u32 s1, 1
	s_cselect_b64 vcc, -1, 0
	v_add_u32_e32 v4, s16, v2
	v_lshl_or_b32 v2, s6, 10, v0
	s_lshl_b32 s6, s0, 10
	s_mov_b64 s[4:5], 0
	v_mov_b32_e32 v0, s15
	v_mov_b32_e32 v1, s13
	;; [unrolled: 1-line block ×3, first 2 shown]
.LBB4_2:                                ; =>This Inner Loop Header: Depth=1
	v_lshlrev_b64 v[10:11], 2, v[2:3]
	v_add_co_u32_e64 v10, s[0:1], s14, v10
	v_addc_co_u32_e64 v11, s[0:1], v0, v11, s[0:1]
	global_load_dwordx2 v[14:15], v[10:11], off
	v_lshlrev_b64 v[6:7], 4, v[6:7]
	v_add_co_u32_e64 v6, s[0:1], s12, v6
	v_addc_co_u32_e64 v7, s[0:1], v1, v7, s[0:1]
	global_load_dwordx4 v[10:13], v[6:7], off
	v_mov_b32_e32 v5, v3
	v_pk_mov_b32 v[6:7], v[4:5], v[4:5] op_sel:[0,1]
	v_cmp_le_u64_e64 s[0:1], s[8:9], v[4:5]
	s_or_b64 s[4:5], s[0:1], s[4:5]
	v_add_u32_e32 v2, s6, v2
	v_add_u32_e32 v4, s16, v4
	s_waitcnt vmcnt(1)
	v_subrev_u32_e32 v5, s7, v14
	v_subrev_u32_e32 v9, s7, v15
	v_cndmask_b32_e32 v15, v5, v9, vcc
	v_cndmask_b32_e32 v14, v9, v5, vcc
	v_ashrrev_i32_e32 v5, 31, v15
	v_mul_lo_u32 v9, v15, s11
	v_mad_u64_u32 v[16:17], s[0:1], v15, s10, 0
	v_mul_lo_u32 v5, v5, s10
	v_add3_u32 v17, v17, v9, v5
	v_lshlrev_b64 v[16:17], 4, v[16:17]
	v_ashrrev_i32_e32 v15, 31, v14
	v_add_co_u32_e64 v5, s[0:1], s2, v16
	v_lshlrev_b64 v[14:15], 4, v[14:15]
	v_addc_co_u32_e64 v9, s[0:1], v8, v17, s[0:1]
	v_add_co_u32_e64 v14, s[0:1], v5, v14
	v_addc_co_u32_e64 v15, s[0:1], v9, v15, s[0:1]
	s_waitcnt vmcnt(0)
	global_store_dwordx4 v[14:15], v[10:13], off
	s_andn2_b64 exec, exec, s[4:5]
	s_cbranch_execnz .LBB4_2
.LBB4_3:
	s_endpgm
	.section	.rodata,"a",@progbits
	.p2align	6, 0x0
	.amdhsa_kernel _ZN9rocsparseL20coo2dense_aos_kernelILj512Ei21rocsparse_complex_numIdEEEvT0_S3_ll21rocsparse_index_base_PKT1_PKS3_PS5_16rocsparse_order_
		.amdhsa_group_segment_fixed_size 0
		.amdhsa_private_segment_fixed_size 0
		.amdhsa_kernarg_size 320
		.amdhsa_user_sgpr_count 6
		.amdhsa_user_sgpr_private_segment_buffer 1
		.amdhsa_user_sgpr_dispatch_ptr 0
		.amdhsa_user_sgpr_queue_ptr 0
		.amdhsa_user_sgpr_kernarg_segment_ptr 1
		.amdhsa_user_sgpr_dispatch_id 0
		.amdhsa_user_sgpr_flat_scratch_init 0
		.amdhsa_user_sgpr_kernarg_preload_length 0
		.amdhsa_user_sgpr_kernarg_preload_offset 0
		.amdhsa_user_sgpr_private_segment_size 0
		.amdhsa_uses_dynamic_stack 0
		.amdhsa_system_sgpr_private_segment_wavefront_offset 0
		.amdhsa_system_sgpr_workgroup_id_x 1
		.amdhsa_system_sgpr_workgroup_id_y 0
		.amdhsa_system_sgpr_workgroup_id_z 0
		.amdhsa_system_sgpr_workgroup_info 0
		.amdhsa_system_vgpr_workitem_id 0
		.amdhsa_next_free_vgpr 18
		.amdhsa_next_free_sgpr 17
		.amdhsa_accum_offset 20
		.amdhsa_reserve_vcc 1
		.amdhsa_reserve_flat_scratch 0
		.amdhsa_float_round_mode_32 0
		.amdhsa_float_round_mode_16_64 0
		.amdhsa_float_denorm_mode_32 3
		.amdhsa_float_denorm_mode_16_64 3
		.amdhsa_dx10_clamp 1
		.amdhsa_ieee_mode 1
		.amdhsa_fp16_overflow 0
		.amdhsa_tg_split 0
		.amdhsa_exception_fp_ieee_invalid_op 0
		.amdhsa_exception_fp_denorm_src 0
		.amdhsa_exception_fp_ieee_div_zero 0
		.amdhsa_exception_fp_ieee_overflow 0
		.amdhsa_exception_fp_ieee_underflow 0
		.amdhsa_exception_fp_ieee_inexact 0
		.amdhsa_exception_int_div_zero 0
	.end_amdhsa_kernel
	.section	.text._ZN9rocsparseL20coo2dense_aos_kernelILj512Ei21rocsparse_complex_numIdEEEvT0_S3_ll21rocsparse_index_base_PKT1_PKS3_PS5_16rocsparse_order_,"axG",@progbits,_ZN9rocsparseL20coo2dense_aos_kernelILj512Ei21rocsparse_complex_numIdEEEvT0_S3_ll21rocsparse_index_base_PKT1_PKS3_PS5_16rocsparse_order_,comdat
.Lfunc_end4:
	.size	_ZN9rocsparseL20coo2dense_aos_kernelILj512Ei21rocsparse_complex_numIdEEEvT0_S3_ll21rocsparse_index_base_PKT1_PKS3_PS5_16rocsparse_order_, .Lfunc_end4-_ZN9rocsparseL20coo2dense_aos_kernelILj512Ei21rocsparse_complex_numIdEEEvT0_S3_ll21rocsparse_index_base_PKT1_PKS3_PS5_16rocsparse_order_
                                        ; -- End function
	.section	.AMDGPU.csdata,"",@progbits
; Kernel info:
; codeLenInByte = 364
; NumSgprs: 21
; NumVgprs: 18
; NumAgprs: 0
; TotalNumVgprs: 18
; ScratchSize: 0
; MemoryBound: 0
; FloatMode: 240
; IeeeMode: 1
; LDSByteSize: 0 bytes/workgroup (compile time only)
; SGPRBlocks: 2
; VGPRBlocks: 2
; NumSGPRsForWavesPerEU: 21
; NumVGPRsForWavesPerEU: 18
; AccumOffset: 20
; Occupancy: 8
; WaveLimiterHint : 1
; COMPUTE_PGM_RSRC2:SCRATCH_EN: 0
; COMPUTE_PGM_RSRC2:USER_SGPR: 6
; COMPUTE_PGM_RSRC2:TRAP_HANDLER: 0
; COMPUTE_PGM_RSRC2:TGID_X_EN: 1
; COMPUTE_PGM_RSRC2:TGID_Y_EN: 0
; COMPUTE_PGM_RSRC2:TGID_Z_EN: 0
; COMPUTE_PGM_RSRC2:TIDIG_COMP_CNT: 0
; COMPUTE_PGM_RSRC3_GFX90A:ACCUM_OFFSET: 4
; COMPUTE_PGM_RSRC3_GFX90A:TG_SPLIT: 0
	.section	.text._ZN9rocsparseL20coo2dense_aos_kernelILj512ElDF16_EEvT0_S1_ll21rocsparse_index_base_PKT1_PKS1_PS3_16rocsparse_order_,"axG",@progbits,_ZN9rocsparseL20coo2dense_aos_kernelILj512ElDF16_EEvT0_S1_ll21rocsparse_index_base_PKT1_PKS1_PS3_16rocsparse_order_,comdat
	.globl	_ZN9rocsparseL20coo2dense_aos_kernelILj512ElDF16_EEvT0_S1_ll21rocsparse_index_base_PKT1_PKS1_PS3_16rocsparse_order_ ; -- Begin function _ZN9rocsparseL20coo2dense_aos_kernelILj512ElDF16_EEvT0_S1_ll21rocsparse_index_base_PKT1_PKS1_PS3_16rocsparse_order_
	.p2align	8
	.type	_ZN9rocsparseL20coo2dense_aos_kernelILj512ElDF16_EEvT0_S1_ll21rocsparse_index_base_PKT1_PKS1_PS3_16rocsparse_order_,@function
_ZN9rocsparseL20coo2dense_aos_kernelILj512ElDF16_EEvT0_S1_ll21rocsparse_index_base_PKT1_PKS1_PS3_16rocsparse_order_: ; @_ZN9rocsparseL20coo2dense_aos_kernelILj512ElDF16_EEvT0_S1_ll21rocsparse_index_base_PKT1_PKS1_PS3_16rocsparse_order_
; %bb.0:
	s_load_dwordx4 s[8:11], s[4:5], 0x10
	v_lshl_or_b32 v2, s6, 9, v0
	v_mov_b32_e32 v3, 0
	s_waitcnt lgkmcnt(0)
	v_cmp_gt_i64_e32 vcc, s[8:9], v[2:3]
	s_and_saveexec_b64 s[0:1], vcc
	s_cbranch_execz .LBB5_3
; %bb.1:
	s_load_dwordx2 s[2:3], s[4:5], 0x38
	s_load_dword s0, s[4:5], 0x40
	s_load_dword s1, s[4:5], 0x48
	;; [unrolled: 1-line block ×3, first 2 shown]
	s_load_dwordx4 s[12:15], s[4:5], 0x28
	s_mov_b32 s17, 0
	v_lshlrev_b32_e32 v0, 1, v0
	v_pk_mov_b32 v[6:7], v[2:3], v[2:3] op_sel:[0,1]
	s_waitcnt lgkmcnt(0)
	s_lshl_b32 s16, s1, 9
	s_cmp_eq_u32 s0, 1
	s_cselect_b64 vcc, -1, 0
	v_add_u32_e32 v4, s16, v2
	v_lshl_or_b32 v2, s6, 10, v0
	s_lshl_b32 s6, s1, 10
	s_mov_b64 s[4:5], 0
	v_mov_b32_e32 v0, s15
	v_mov_b32_e32 v1, s17
	;; [unrolled: 1-line block ×4, first 2 shown]
.LBB5_2:                                ; =>This Inner Loop Header: Depth=1
	v_lshlrev_b64 v[10:11], 3, v[2:3]
	v_add_co_u32_e64 v10, s[0:1], s14, v10
	v_addc_co_u32_e64 v11, s[0:1], v0, v11, s[0:1]
	global_load_dwordx4 v[10:13], v[10:11], off
	v_lshlrev_b64 v[6:7], 1, v[6:7]
	v_add_co_u32_e64 v6, s[0:1], s12, v6
	v_addc_co_u32_e64 v7, s[0:1], v8, v7, s[0:1]
	global_load_ushort v14, v[6:7], off
	v_mov_b32_e32 v5, v3
	v_cmp_le_u64_e64 s[0:1], s[8:9], v[4:5]
	v_pk_mov_b32 v[6:7], v[4:5], v[4:5] op_sel:[0,1]
	s_or_b64 s[4:5], s[0:1], s[4:5]
	v_add_u32_e32 v2, s6, v2
	v_add_u32_e32 v4, s16, v4
	s_waitcnt vmcnt(1)
	v_subrev_co_u32_e64 v5, s[0:1], s7, v10
	v_subb_co_u32_e64 v10, s[0:1], v11, v1, s[0:1]
	v_subrev_co_u32_e64 v12, s[0:1], s7, v12
	v_subb_co_u32_e64 v11, s[0:1], v13, v1, s[0:1]
	v_cndmask_b32_e32 v13, v5, v12, vcc
	v_cndmask_b32_e32 v15, v10, v11, vcc
	;; [unrolled: 1-line block ×4, first 2 shown]
	v_mul_lo_u32 v5, v15, s10
	v_mul_lo_u32 v15, v13, s11
	v_mad_u64_u32 v[12:13], s[0:1], v13, s10, 0
	v_add3_u32 v13, v13, v15, v5
	v_lshlrev_b64 v[12:13], 1, v[12:13]
	v_add_co_u32_e64 v5, s[0:1], s2, v12
	v_lshlrev_b64 v[10:11], 1, v[10:11]
	v_addc_co_u32_e64 v12, s[0:1], v9, v13, s[0:1]
	v_add_co_u32_e64 v10, s[0:1], v5, v10
	v_addc_co_u32_e64 v11, s[0:1], v12, v11, s[0:1]
	s_waitcnt vmcnt(0)
	global_store_short v[10:11], v14, off
	s_andn2_b64 exec, exec, s[4:5]
	s_cbranch_execnz .LBB5_2
.LBB5_3:
	s_endpgm
	.section	.rodata,"a",@progbits
	.p2align	6, 0x0
	.amdhsa_kernel _ZN9rocsparseL20coo2dense_aos_kernelILj512ElDF16_EEvT0_S1_ll21rocsparse_index_base_PKT1_PKS1_PS3_16rocsparse_order_
		.amdhsa_group_segment_fixed_size 0
		.amdhsa_private_segment_fixed_size 0
		.amdhsa_kernarg_size 328
		.amdhsa_user_sgpr_count 6
		.amdhsa_user_sgpr_private_segment_buffer 1
		.amdhsa_user_sgpr_dispatch_ptr 0
		.amdhsa_user_sgpr_queue_ptr 0
		.amdhsa_user_sgpr_kernarg_segment_ptr 1
		.amdhsa_user_sgpr_dispatch_id 0
		.amdhsa_user_sgpr_flat_scratch_init 0
		.amdhsa_user_sgpr_kernarg_preload_length 0
		.amdhsa_user_sgpr_kernarg_preload_offset 0
		.amdhsa_user_sgpr_private_segment_size 0
		.amdhsa_uses_dynamic_stack 0
		.amdhsa_system_sgpr_private_segment_wavefront_offset 0
		.amdhsa_system_sgpr_workgroup_id_x 1
		.amdhsa_system_sgpr_workgroup_id_y 0
		.amdhsa_system_sgpr_workgroup_id_z 0
		.amdhsa_system_sgpr_workgroup_info 0
		.amdhsa_system_vgpr_workitem_id 0
		.amdhsa_next_free_vgpr 16
		.amdhsa_next_free_sgpr 18
		.amdhsa_accum_offset 16
		.amdhsa_reserve_vcc 1
		.amdhsa_reserve_flat_scratch 0
		.amdhsa_float_round_mode_32 0
		.amdhsa_float_round_mode_16_64 0
		.amdhsa_float_denorm_mode_32 3
		.amdhsa_float_denorm_mode_16_64 3
		.amdhsa_dx10_clamp 1
		.amdhsa_ieee_mode 1
		.amdhsa_fp16_overflow 0
		.amdhsa_tg_split 0
		.amdhsa_exception_fp_ieee_invalid_op 0
		.amdhsa_exception_fp_denorm_src 0
		.amdhsa_exception_fp_ieee_div_zero 0
		.amdhsa_exception_fp_ieee_overflow 0
		.amdhsa_exception_fp_ieee_underflow 0
		.amdhsa_exception_fp_ieee_inexact 0
		.amdhsa_exception_int_div_zero 0
	.end_amdhsa_kernel
	.section	.text._ZN9rocsparseL20coo2dense_aos_kernelILj512ElDF16_EEvT0_S1_ll21rocsparse_index_base_PKT1_PKS1_PS3_16rocsparse_order_,"axG",@progbits,_ZN9rocsparseL20coo2dense_aos_kernelILj512ElDF16_EEvT0_S1_ll21rocsparse_index_base_PKT1_PKS1_PS3_16rocsparse_order_,comdat
.Lfunc_end5:
	.size	_ZN9rocsparseL20coo2dense_aos_kernelILj512ElDF16_EEvT0_S1_ll21rocsparse_index_base_PKT1_PKS1_PS3_16rocsparse_order_, .Lfunc_end5-_ZN9rocsparseL20coo2dense_aos_kernelILj512ElDF16_EEvT0_S1_ll21rocsparse_index_base_PKT1_PKS1_PS3_16rocsparse_order_
                                        ; -- End function
	.section	.AMDGPU.csdata,"",@progbits
; Kernel info:
; codeLenInByte = 396
; NumSgprs: 22
; NumVgprs: 16
; NumAgprs: 0
; TotalNumVgprs: 16
; ScratchSize: 0
; MemoryBound: 0
; FloatMode: 240
; IeeeMode: 1
; LDSByteSize: 0 bytes/workgroup (compile time only)
; SGPRBlocks: 2
; VGPRBlocks: 1
; NumSGPRsForWavesPerEU: 22
; NumVGPRsForWavesPerEU: 16
; AccumOffset: 16
; Occupancy: 8
; WaveLimiterHint : 1
; COMPUTE_PGM_RSRC2:SCRATCH_EN: 0
; COMPUTE_PGM_RSRC2:USER_SGPR: 6
; COMPUTE_PGM_RSRC2:TRAP_HANDLER: 0
; COMPUTE_PGM_RSRC2:TGID_X_EN: 1
; COMPUTE_PGM_RSRC2:TGID_Y_EN: 0
; COMPUTE_PGM_RSRC2:TGID_Z_EN: 0
; COMPUTE_PGM_RSRC2:TIDIG_COMP_CNT: 0
; COMPUTE_PGM_RSRC3_GFX90A:ACCUM_OFFSET: 3
; COMPUTE_PGM_RSRC3_GFX90A:TG_SPLIT: 0
	.section	.text._ZN9rocsparseL20coo2dense_aos_kernelILj512ElfEEvT0_S1_ll21rocsparse_index_base_PKT1_PKS1_PS3_16rocsparse_order_,"axG",@progbits,_ZN9rocsparseL20coo2dense_aos_kernelILj512ElfEEvT0_S1_ll21rocsparse_index_base_PKT1_PKS1_PS3_16rocsparse_order_,comdat
	.globl	_ZN9rocsparseL20coo2dense_aos_kernelILj512ElfEEvT0_S1_ll21rocsparse_index_base_PKT1_PKS1_PS3_16rocsparse_order_ ; -- Begin function _ZN9rocsparseL20coo2dense_aos_kernelILj512ElfEEvT0_S1_ll21rocsparse_index_base_PKT1_PKS1_PS3_16rocsparse_order_
	.p2align	8
	.type	_ZN9rocsparseL20coo2dense_aos_kernelILj512ElfEEvT0_S1_ll21rocsparse_index_base_PKT1_PKS1_PS3_16rocsparse_order_,@function
_ZN9rocsparseL20coo2dense_aos_kernelILj512ElfEEvT0_S1_ll21rocsparse_index_base_PKT1_PKS1_PS3_16rocsparse_order_: ; @_ZN9rocsparseL20coo2dense_aos_kernelILj512ElfEEvT0_S1_ll21rocsparse_index_base_PKT1_PKS1_PS3_16rocsparse_order_
; %bb.0:
	s_load_dwordx4 s[8:11], s[4:5], 0x10
	v_lshl_or_b32 v2, s6, 9, v0
	v_mov_b32_e32 v3, 0
	s_waitcnt lgkmcnt(0)
	v_cmp_gt_i64_e32 vcc, s[8:9], v[2:3]
	s_and_saveexec_b64 s[0:1], vcc
	s_cbranch_execz .LBB6_3
; %bb.1:
	s_load_dwordx2 s[2:3], s[4:5], 0x38
	s_load_dword s0, s[4:5], 0x40
	s_load_dword s1, s[4:5], 0x48
	;; [unrolled: 1-line block ×3, first 2 shown]
	s_load_dwordx4 s[12:15], s[4:5], 0x28
	s_mov_b32 s17, 0
	v_lshlrev_b32_e32 v0, 1, v0
	v_pk_mov_b32 v[6:7], v[2:3], v[2:3] op_sel:[0,1]
	s_waitcnt lgkmcnt(0)
	s_lshl_b32 s16, s1, 9
	s_cmp_eq_u32 s0, 1
	s_cselect_b64 vcc, -1, 0
	v_add_u32_e32 v4, s16, v2
	v_lshl_or_b32 v2, s6, 10, v0
	s_lshl_b32 s6, s1, 10
	s_mov_b64 s[4:5], 0
	v_mov_b32_e32 v0, s15
	v_mov_b32_e32 v1, s17
	;; [unrolled: 1-line block ×4, first 2 shown]
.LBB6_2:                                ; =>This Inner Loop Header: Depth=1
	v_lshlrev_b64 v[10:11], 3, v[2:3]
	v_add_co_u32_e64 v10, s[0:1], s14, v10
	v_addc_co_u32_e64 v11, s[0:1], v0, v11, s[0:1]
	global_load_dwordx4 v[10:13], v[10:11], off
	v_lshlrev_b64 v[6:7], 2, v[6:7]
	v_add_co_u32_e64 v6, s[0:1], s12, v6
	v_addc_co_u32_e64 v7, s[0:1], v8, v7, s[0:1]
	global_load_dword v14, v[6:7], off
	v_mov_b32_e32 v5, v3
	v_cmp_le_u64_e64 s[0:1], s[8:9], v[4:5]
	v_pk_mov_b32 v[6:7], v[4:5], v[4:5] op_sel:[0,1]
	s_or_b64 s[4:5], s[0:1], s[4:5]
	v_add_u32_e32 v2, s6, v2
	v_add_u32_e32 v4, s16, v4
	s_waitcnt vmcnt(1)
	v_subrev_co_u32_e64 v5, s[0:1], s7, v10
	v_subb_co_u32_e64 v10, s[0:1], v11, v1, s[0:1]
	v_subrev_co_u32_e64 v12, s[0:1], s7, v12
	v_subb_co_u32_e64 v11, s[0:1], v13, v1, s[0:1]
	v_cndmask_b32_e32 v13, v5, v12, vcc
	v_cndmask_b32_e32 v15, v10, v11, vcc
	;; [unrolled: 1-line block ×4, first 2 shown]
	v_mul_lo_u32 v5, v15, s10
	v_mul_lo_u32 v15, v13, s11
	v_mad_u64_u32 v[12:13], s[0:1], v13, s10, 0
	v_add3_u32 v13, v13, v15, v5
	v_lshlrev_b64 v[12:13], 2, v[12:13]
	v_add_co_u32_e64 v5, s[0:1], s2, v12
	v_lshlrev_b64 v[10:11], 2, v[10:11]
	v_addc_co_u32_e64 v12, s[0:1], v9, v13, s[0:1]
	v_add_co_u32_e64 v10, s[0:1], v5, v10
	v_addc_co_u32_e64 v11, s[0:1], v12, v11, s[0:1]
	s_waitcnt vmcnt(0)
	global_store_dword v[10:11], v14, off
	s_andn2_b64 exec, exec, s[4:5]
	s_cbranch_execnz .LBB6_2
.LBB6_3:
	s_endpgm
	.section	.rodata,"a",@progbits
	.p2align	6, 0x0
	.amdhsa_kernel _ZN9rocsparseL20coo2dense_aos_kernelILj512ElfEEvT0_S1_ll21rocsparse_index_base_PKT1_PKS1_PS3_16rocsparse_order_
		.amdhsa_group_segment_fixed_size 0
		.amdhsa_private_segment_fixed_size 0
		.amdhsa_kernarg_size 328
		.amdhsa_user_sgpr_count 6
		.amdhsa_user_sgpr_private_segment_buffer 1
		.amdhsa_user_sgpr_dispatch_ptr 0
		.amdhsa_user_sgpr_queue_ptr 0
		.amdhsa_user_sgpr_kernarg_segment_ptr 1
		.amdhsa_user_sgpr_dispatch_id 0
		.amdhsa_user_sgpr_flat_scratch_init 0
		.amdhsa_user_sgpr_kernarg_preload_length 0
		.amdhsa_user_sgpr_kernarg_preload_offset 0
		.amdhsa_user_sgpr_private_segment_size 0
		.amdhsa_uses_dynamic_stack 0
		.amdhsa_system_sgpr_private_segment_wavefront_offset 0
		.amdhsa_system_sgpr_workgroup_id_x 1
		.amdhsa_system_sgpr_workgroup_id_y 0
		.amdhsa_system_sgpr_workgroup_id_z 0
		.amdhsa_system_sgpr_workgroup_info 0
		.amdhsa_system_vgpr_workitem_id 0
		.amdhsa_next_free_vgpr 16
		.amdhsa_next_free_sgpr 18
		.amdhsa_accum_offset 16
		.amdhsa_reserve_vcc 1
		.amdhsa_reserve_flat_scratch 0
		.amdhsa_float_round_mode_32 0
		.amdhsa_float_round_mode_16_64 0
		.amdhsa_float_denorm_mode_32 3
		.amdhsa_float_denorm_mode_16_64 3
		.amdhsa_dx10_clamp 1
		.amdhsa_ieee_mode 1
		.amdhsa_fp16_overflow 0
		.amdhsa_tg_split 0
		.amdhsa_exception_fp_ieee_invalid_op 0
		.amdhsa_exception_fp_denorm_src 0
		.amdhsa_exception_fp_ieee_div_zero 0
		.amdhsa_exception_fp_ieee_overflow 0
		.amdhsa_exception_fp_ieee_underflow 0
		.amdhsa_exception_fp_ieee_inexact 0
		.amdhsa_exception_int_div_zero 0
	.end_amdhsa_kernel
	.section	.text._ZN9rocsparseL20coo2dense_aos_kernelILj512ElfEEvT0_S1_ll21rocsparse_index_base_PKT1_PKS1_PS3_16rocsparse_order_,"axG",@progbits,_ZN9rocsparseL20coo2dense_aos_kernelILj512ElfEEvT0_S1_ll21rocsparse_index_base_PKT1_PKS1_PS3_16rocsparse_order_,comdat
.Lfunc_end6:
	.size	_ZN9rocsparseL20coo2dense_aos_kernelILj512ElfEEvT0_S1_ll21rocsparse_index_base_PKT1_PKS1_PS3_16rocsparse_order_, .Lfunc_end6-_ZN9rocsparseL20coo2dense_aos_kernelILj512ElfEEvT0_S1_ll21rocsparse_index_base_PKT1_PKS1_PS3_16rocsparse_order_
                                        ; -- End function
	.section	.AMDGPU.csdata,"",@progbits
; Kernel info:
; codeLenInByte = 396
; NumSgprs: 22
; NumVgprs: 16
; NumAgprs: 0
; TotalNumVgprs: 16
; ScratchSize: 0
; MemoryBound: 0
; FloatMode: 240
; IeeeMode: 1
; LDSByteSize: 0 bytes/workgroup (compile time only)
; SGPRBlocks: 2
; VGPRBlocks: 1
; NumSGPRsForWavesPerEU: 22
; NumVGPRsForWavesPerEU: 16
; AccumOffset: 16
; Occupancy: 8
; WaveLimiterHint : 1
; COMPUTE_PGM_RSRC2:SCRATCH_EN: 0
; COMPUTE_PGM_RSRC2:USER_SGPR: 6
; COMPUTE_PGM_RSRC2:TRAP_HANDLER: 0
; COMPUTE_PGM_RSRC2:TGID_X_EN: 1
; COMPUTE_PGM_RSRC2:TGID_Y_EN: 0
; COMPUTE_PGM_RSRC2:TGID_Z_EN: 0
; COMPUTE_PGM_RSRC2:TIDIG_COMP_CNT: 0
; COMPUTE_PGM_RSRC3_GFX90A:ACCUM_OFFSET: 3
; COMPUTE_PGM_RSRC3_GFX90A:TG_SPLIT: 0
	.section	.text._ZN9rocsparseL20coo2dense_aos_kernelILj512EldEEvT0_S1_ll21rocsparse_index_base_PKT1_PKS1_PS3_16rocsparse_order_,"axG",@progbits,_ZN9rocsparseL20coo2dense_aos_kernelILj512EldEEvT0_S1_ll21rocsparse_index_base_PKT1_PKS1_PS3_16rocsparse_order_,comdat
	.globl	_ZN9rocsparseL20coo2dense_aos_kernelILj512EldEEvT0_S1_ll21rocsparse_index_base_PKT1_PKS1_PS3_16rocsparse_order_ ; -- Begin function _ZN9rocsparseL20coo2dense_aos_kernelILj512EldEEvT0_S1_ll21rocsparse_index_base_PKT1_PKS1_PS3_16rocsparse_order_
	.p2align	8
	.type	_ZN9rocsparseL20coo2dense_aos_kernelILj512EldEEvT0_S1_ll21rocsparse_index_base_PKT1_PKS1_PS3_16rocsparse_order_,@function
_ZN9rocsparseL20coo2dense_aos_kernelILj512EldEEvT0_S1_ll21rocsparse_index_base_PKT1_PKS1_PS3_16rocsparse_order_: ; @_ZN9rocsparseL20coo2dense_aos_kernelILj512EldEEvT0_S1_ll21rocsparse_index_base_PKT1_PKS1_PS3_16rocsparse_order_
; %bb.0:
	s_load_dwordx4 s[8:11], s[4:5], 0x10
	v_lshl_or_b32 v2, s6, 9, v0
	v_mov_b32_e32 v3, 0
	s_waitcnt lgkmcnt(0)
	v_cmp_gt_i64_e32 vcc, s[8:9], v[2:3]
	s_and_saveexec_b64 s[0:1], vcc
	s_cbranch_execz .LBB7_3
; %bb.1:
	s_load_dwordx2 s[2:3], s[4:5], 0x38
	s_load_dword s0, s[4:5], 0x40
	s_load_dword s1, s[4:5], 0x48
	;; [unrolled: 1-line block ×3, first 2 shown]
	s_load_dwordx4 s[12:15], s[4:5], 0x28
	s_mov_b32 s17, 0
	v_lshlrev_b32_e32 v0, 1, v0
	v_pk_mov_b32 v[6:7], v[2:3], v[2:3] op_sel:[0,1]
	s_waitcnt lgkmcnt(0)
	s_lshl_b32 s16, s1, 9
	s_cmp_eq_u32 s0, 1
	s_cselect_b64 vcc, -1, 0
	v_add_u32_e32 v4, s16, v2
	v_lshl_or_b32 v2, s6, 10, v0
	s_lshl_b32 s6, s1, 10
	s_mov_b64 s[4:5], 0
	v_mov_b32_e32 v0, s15
	v_mov_b32_e32 v1, s17
	;; [unrolled: 1-line block ×4, first 2 shown]
.LBB7_2:                                ; =>This Inner Loop Header: Depth=1
	v_lshlrev_b64 v[10:11], 3, v[2:3]
	v_add_co_u32_e64 v10, s[0:1], s14, v10
	v_addc_co_u32_e64 v11, s[0:1], v0, v11, s[0:1]
	global_load_dwordx4 v[10:13], v[10:11], off
	v_lshlrev_b64 v[6:7], 3, v[6:7]
	v_add_co_u32_e64 v6, s[0:1], s12, v6
	v_addc_co_u32_e64 v7, s[0:1], v8, v7, s[0:1]
	global_load_dwordx2 v[14:15], v[6:7], off
	v_mov_b32_e32 v5, v3
	v_cmp_le_u64_e64 s[0:1], s[8:9], v[4:5]
	v_pk_mov_b32 v[6:7], v[4:5], v[4:5] op_sel:[0,1]
	s_or_b64 s[4:5], s[0:1], s[4:5]
	v_add_u32_e32 v2, s6, v2
	v_add_u32_e32 v4, s16, v4
	s_waitcnt vmcnt(1)
	v_subrev_co_u32_e64 v5, s[0:1], s7, v10
	v_subb_co_u32_e64 v10, s[0:1], v11, v1, s[0:1]
	v_subrev_co_u32_e64 v12, s[0:1], s7, v12
	v_subb_co_u32_e64 v11, s[0:1], v13, v1, s[0:1]
	v_cndmask_b32_e32 v13, v5, v12, vcc
	v_cndmask_b32_e32 v16, v10, v11, vcc
	;; [unrolled: 1-line block ×4, first 2 shown]
	v_mul_lo_u32 v5, v16, s10
	v_mul_lo_u32 v16, v13, s11
	v_mad_u64_u32 v[12:13], s[0:1], v13, s10, 0
	v_add3_u32 v13, v13, v16, v5
	v_lshlrev_b64 v[12:13], 3, v[12:13]
	v_add_co_u32_e64 v5, s[0:1], s2, v12
	v_lshlrev_b64 v[10:11], 3, v[10:11]
	v_addc_co_u32_e64 v12, s[0:1], v9, v13, s[0:1]
	v_add_co_u32_e64 v10, s[0:1], v5, v10
	v_addc_co_u32_e64 v11, s[0:1], v12, v11, s[0:1]
	s_waitcnt vmcnt(0)
	global_store_dwordx2 v[10:11], v[14:15], off
	s_andn2_b64 exec, exec, s[4:5]
	s_cbranch_execnz .LBB7_2
.LBB7_3:
	s_endpgm
	.section	.rodata,"a",@progbits
	.p2align	6, 0x0
	.amdhsa_kernel _ZN9rocsparseL20coo2dense_aos_kernelILj512EldEEvT0_S1_ll21rocsparse_index_base_PKT1_PKS1_PS3_16rocsparse_order_
		.amdhsa_group_segment_fixed_size 0
		.amdhsa_private_segment_fixed_size 0
		.amdhsa_kernarg_size 328
		.amdhsa_user_sgpr_count 6
		.amdhsa_user_sgpr_private_segment_buffer 1
		.amdhsa_user_sgpr_dispatch_ptr 0
		.amdhsa_user_sgpr_queue_ptr 0
		.amdhsa_user_sgpr_kernarg_segment_ptr 1
		.amdhsa_user_sgpr_dispatch_id 0
		.amdhsa_user_sgpr_flat_scratch_init 0
		.amdhsa_user_sgpr_kernarg_preload_length 0
		.amdhsa_user_sgpr_kernarg_preload_offset 0
		.amdhsa_user_sgpr_private_segment_size 0
		.amdhsa_uses_dynamic_stack 0
		.amdhsa_system_sgpr_private_segment_wavefront_offset 0
		.amdhsa_system_sgpr_workgroup_id_x 1
		.amdhsa_system_sgpr_workgroup_id_y 0
		.amdhsa_system_sgpr_workgroup_id_z 0
		.amdhsa_system_sgpr_workgroup_info 0
		.amdhsa_system_vgpr_workitem_id 0
		.amdhsa_next_free_vgpr 17
		.amdhsa_next_free_sgpr 18
		.amdhsa_accum_offset 20
		.amdhsa_reserve_vcc 1
		.amdhsa_reserve_flat_scratch 0
		.amdhsa_float_round_mode_32 0
		.amdhsa_float_round_mode_16_64 0
		.amdhsa_float_denorm_mode_32 3
		.amdhsa_float_denorm_mode_16_64 3
		.amdhsa_dx10_clamp 1
		.amdhsa_ieee_mode 1
		.amdhsa_fp16_overflow 0
		.amdhsa_tg_split 0
		.amdhsa_exception_fp_ieee_invalid_op 0
		.amdhsa_exception_fp_denorm_src 0
		.amdhsa_exception_fp_ieee_div_zero 0
		.amdhsa_exception_fp_ieee_overflow 0
		.amdhsa_exception_fp_ieee_underflow 0
		.amdhsa_exception_fp_ieee_inexact 0
		.amdhsa_exception_int_div_zero 0
	.end_amdhsa_kernel
	.section	.text._ZN9rocsparseL20coo2dense_aos_kernelILj512EldEEvT0_S1_ll21rocsparse_index_base_PKT1_PKS1_PS3_16rocsparse_order_,"axG",@progbits,_ZN9rocsparseL20coo2dense_aos_kernelILj512EldEEvT0_S1_ll21rocsparse_index_base_PKT1_PKS1_PS3_16rocsparse_order_,comdat
.Lfunc_end7:
	.size	_ZN9rocsparseL20coo2dense_aos_kernelILj512EldEEvT0_S1_ll21rocsparse_index_base_PKT1_PKS1_PS3_16rocsparse_order_, .Lfunc_end7-_ZN9rocsparseL20coo2dense_aos_kernelILj512EldEEvT0_S1_ll21rocsparse_index_base_PKT1_PKS1_PS3_16rocsparse_order_
                                        ; -- End function
	.section	.AMDGPU.csdata,"",@progbits
; Kernel info:
; codeLenInByte = 396
; NumSgprs: 22
; NumVgprs: 17
; NumAgprs: 0
; TotalNumVgprs: 17
; ScratchSize: 0
; MemoryBound: 0
; FloatMode: 240
; IeeeMode: 1
; LDSByteSize: 0 bytes/workgroup (compile time only)
; SGPRBlocks: 2
; VGPRBlocks: 2
; NumSGPRsForWavesPerEU: 22
; NumVGPRsForWavesPerEU: 17
; AccumOffset: 20
; Occupancy: 8
; WaveLimiterHint : 1
; COMPUTE_PGM_RSRC2:SCRATCH_EN: 0
; COMPUTE_PGM_RSRC2:USER_SGPR: 6
; COMPUTE_PGM_RSRC2:TRAP_HANDLER: 0
; COMPUTE_PGM_RSRC2:TGID_X_EN: 1
; COMPUTE_PGM_RSRC2:TGID_Y_EN: 0
; COMPUTE_PGM_RSRC2:TGID_Z_EN: 0
; COMPUTE_PGM_RSRC2:TIDIG_COMP_CNT: 0
; COMPUTE_PGM_RSRC3_GFX90A:ACCUM_OFFSET: 4
; COMPUTE_PGM_RSRC3_GFX90A:TG_SPLIT: 0
	.section	.text._ZN9rocsparseL20coo2dense_aos_kernelILj512El21rocsparse_complex_numIfEEEvT0_S3_ll21rocsparse_index_base_PKT1_PKS3_PS5_16rocsparse_order_,"axG",@progbits,_ZN9rocsparseL20coo2dense_aos_kernelILj512El21rocsparse_complex_numIfEEEvT0_S3_ll21rocsparse_index_base_PKT1_PKS3_PS5_16rocsparse_order_,comdat
	.globl	_ZN9rocsparseL20coo2dense_aos_kernelILj512El21rocsparse_complex_numIfEEEvT0_S3_ll21rocsparse_index_base_PKT1_PKS3_PS5_16rocsparse_order_ ; -- Begin function _ZN9rocsparseL20coo2dense_aos_kernelILj512El21rocsparse_complex_numIfEEEvT0_S3_ll21rocsparse_index_base_PKT1_PKS3_PS5_16rocsparse_order_
	.p2align	8
	.type	_ZN9rocsparseL20coo2dense_aos_kernelILj512El21rocsparse_complex_numIfEEEvT0_S3_ll21rocsparse_index_base_PKT1_PKS3_PS5_16rocsparse_order_,@function
_ZN9rocsparseL20coo2dense_aos_kernelILj512El21rocsparse_complex_numIfEEEvT0_S3_ll21rocsparse_index_base_PKT1_PKS3_PS5_16rocsparse_order_: ; @_ZN9rocsparseL20coo2dense_aos_kernelILj512El21rocsparse_complex_numIfEEEvT0_S3_ll21rocsparse_index_base_PKT1_PKS3_PS5_16rocsparse_order_
; %bb.0:
	s_load_dwordx4 s[8:11], s[4:5], 0x10
	v_lshl_or_b32 v2, s6, 9, v0
	v_mov_b32_e32 v3, 0
	s_waitcnt lgkmcnt(0)
	v_cmp_gt_i64_e32 vcc, s[8:9], v[2:3]
	s_and_saveexec_b64 s[0:1], vcc
	s_cbranch_execz .LBB8_3
; %bb.1:
	s_load_dwordx2 s[2:3], s[4:5], 0x38
	s_load_dword s0, s[4:5], 0x40
	s_load_dword s1, s[4:5], 0x48
	;; [unrolled: 1-line block ×3, first 2 shown]
	s_load_dwordx4 s[12:15], s[4:5], 0x28
	s_mov_b32 s17, 0
	v_lshlrev_b32_e32 v0, 1, v0
	v_pk_mov_b32 v[6:7], v[2:3], v[2:3] op_sel:[0,1]
	s_waitcnt lgkmcnt(0)
	s_lshl_b32 s16, s1, 9
	s_cmp_eq_u32 s0, 1
	s_cselect_b64 vcc, -1, 0
	v_add_u32_e32 v4, s16, v2
	v_lshl_or_b32 v2, s6, 10, v0
	s_lshl_b32 s6, s1, 10
	s_mov_b64 s[4:5], 0
	v_mov_b32_e32 v0, s15
	v_mov_b32_e32 v1, s17
	;; [unrolled: 1-line block ×4, first 2 shown]
.LBB8_2:                                ; =>This Inner Loop Header: Depth=1
	v_lshlrev_b64 v[10:11], 3, v[2:3]
	v_add_co_u32_e64 v10, s[0:1], s14, v10
	v_addc_co_u32_e64 v11, s[0:1], v0, v11, s[0:1]
	global_load_dwordx4 v[10:13], v[10:11], off
	v_lshlrev_b64 v[6:7], 3, v[6:7]
	v_add_co_u32_e64 v6, s[0:1], s12, v6
	v_addc_co_u32_e64 v7, s[0:1], v8, v7, s[0:1]
	global_load_dwordx2 v[14:15], v[6:7], off
	v_mov_b32_e32 v5, v3
	v_cmp_le_u64_e64 s[0:1], s[8:9], v[4:5]
	v_pk_mov_b32 v[6:7], v[4:5], v[4:5] op_sel:[0,1]
	s_or_b64 s[4:5], s[0:1], s[4:5]
	v_add_u32_e32 v2, s6, v2
	v_add_u32_e32 v4, s16, v4
	s_waitcnt vmcnt(1)
	v_subrev_co_u32_e64 v5, s[0:1], s7, v10
	v_subb_co_u32_e64 v10, s[0:1], v11, v1, s[0:1]
	v_subrev_co_u32_e64 v12, s[0:1], s7, v12
	v_subb_co_u32_e64 v11, s[0:1], v13, v1, s[0:1]
	v_cndmask_b32_e32 v13, v5, v12, vcc
	v_cndmask_b32_e32 v16, v10, v11, vcc
	;; [unrolled: 1-line block ×4, first 2 shown]
	v_mul_lo_u32 v5, v16, s10
	v_mul_lo_u32 v16, v13, s11
	v_mad_u64_u32 v[12:13], s[0:1], v13, s10, 0
	v_add3_u32 v13, v13, v16, v5
	v_lshlrev_b64 v[12:13], 3, v[12:13]
	v_add_co_u32_e64 v5, s[0:1], s2, v12
	v_lshlrev_b64 v[10:11], 3, v[10:11]
	v_addc_co_u32_e64 v12, s[0:1], v9, v13, s[0:1]
	v_add_co_u32_e64 v10, s[0:1], v5, v10
	v_addc_co_u32_e64 v11, s[0:1], v12, v11, s[0:1]
	s_waitcnt vmcnt(0)
	global_store_dwordx2 v[10:11], v[14:15], off
	s_andn2_b64 exec, exec, s[4:5]
	s_cbranch_execnz .LBB8_2
.LBB8_3:
	s_endpgm
	.section	.rodata,"a",@progbits
	.p2align	6, 0x0
	.amdhsa_kernel _ZN9rocsparseL20coo2dense_aos_kernelILj512El21rocsparse_complex_numIfEEEvT0_S3_ll21rocsparse_index_base_PKT1_PKS3_PS5_16rocsparse_order_
		.amdhsa_group_segment_fixed_size 0
		.amdhsa_private_segment_fixed_size 0
		.amdhsa_kernarg_size 328
		.amdhsa_user_sgpr_count 6
		.amdhsa_user_sgpr_private_segment_buffer 1
		.amdhsa_user_sgpr_dispatch_ptr 0
		.amdhsa_user_sgpr_queue_ptr 0
		.amdhsa_user_sgpr_kernarg_segment_ptr 1
		.amdhsa_user_sgpr_dispatch_id 0
		.amdhsa_user_sgpr_flat_scratch_init 0
		.amdhsa_user_sgpr_kernarg_preload_length 0
		.amdhsa_user_sgpr_kernarg_preload_offset 0
		.amdhsa_user_sgpr_private_segment_size 0
		.amdhsa_uses_dynamic_stack 0
		.amdhsa_system_sgpr_private_segment_wavefront_offset 0
		.amdhsa_system_sgpr_workgroup_id_x 1
		.amdhsa_system_sgpr_workgroup_id_y 0
		.amdhsa_system_sgpr_workgroup_id_z 0
		.amdhsa_system_sgpr_workgroup_info 0
		.amdhsa_system_vgpr_workitem_id 0
		.amdhsa_next_free_vgpr 17
		.amdhsa_next_free_sgpr 18
		.amdhsa_accum_offset 20
		.amdhsa_reserve_vcc 1
		.amdhsa_reserve_flat_scratch 0
		.amdhsa_float_round_mode_32 0
		.amdhsa_float_round_mode_16_64 0
		.amdhsa_float_denorm_mode_32 3
		.amdhsa_float_denorm_mode_16_64 3
		.amdhsa_dx10_clamp 1
		.amdhsa_ieee_mode 1
		.amdhsa_fp16_overflow 0
		.amdhsa_tg_split 0
		.amdhsa_exception_fp_ieee_invalid_op 0
		.amdhsa_exception_fp_denorm_src 0
		.amdhsa_exception_fp_ieee_div_zero 0
		.amdhsa_exception_fp_ieee_overflow 0
		.amdhsa_exception_fp_ieee_underflow 0
		.amdhsa_exception_fp_ieee_inexact 0
		.amdhsa_exception_int_div_zero 0
	.end_amdhsa_kernel
	.section	.text._ZN9rocsparseL20coo2dense_aos_kernelILj512El21rocsparse_complex_numIfEEEvT0_S3_ll21rocsparse_index_base_PKT1_PKS3_PS5_16rocsparse_order_,"axG",@progbits,_ZN9rocsparseL20coo2dense_aos_kernelILj512El21rocsparse_complex_numIfEEEvT0_S3_ll21rocsparse_index_base_PKT1_PKS3_PS5_16rocsparse_order_,comdat
.Lfunc_end8:
	.size	_ZN9rocsparseL20coo2dense_aos_kernelILj512El21rocsparse_complex_numIfEEEvT0_S3_ll21rocsparse_index_base_PKT1_PKS3_PS5_16rocsparse_order_, .Lfunc_end8-_ZN9rocsparseL20coo2dense_aos_kernelILj512El21rocsparse_complex_numIfEEEvT0_S3_ll21rocsparse_index_base_PKT1_PKS3_PS5_16rocsparse_order_
                                        ; -- End function
	.section	.AMDGPU.csdata,"",@progbits
; Kernel info:
; codeLenInByte = 396
; NumSgprs: 22
; NumVgprs: 17
; NumAgprs: 0
; TotalNumVgprs: 17
; ScratchSize: 0
; MemoryBound: 0
; FloatMode: 240
; IeeeMode: 1
; LDSByteSize: 0 bytes/workgroup (compile time only)
; SGPRBlocks: 2
; VGPRBlocks: 2
; NumSGPRsForWavesPerEU: 22
; NumVGPRsForWavesPerEU: 17
; AccumOffset: 20
; Occupancy: 8
; WaveLimiterHint : 1
; COMPUTE_PGM_RSRC2:SCRATCH_EN: 0
; COMPUTE_PGM_RSRC2:USER_SGPR: 6
; COMPUTE_PGM_RSRC2:TRAP_HANDLER: 0
; COMPUTE_PGM_RSRC2:TGID_X_EN: 1
; COMPUTE_PGM_RSRC2:TGID_Y_EN: 0
; COMPUTE_PGM_RSRC2:TGID_Z_EN: 0
; COMPUTE_PGM_RSRC2:TIDIG_COMP_CNT: 0
; COMPUTE_PGM_RSRC3_GFX90A:ACCUM_OFFSET: 4
; COMPUTE_PGM_RSRC3_GFX90A:TG_SPLIT: 0
	.section	.text._ZN9rocsparseL20coo2dense_aos_kernelILj512El21rocsparse_complex_numIdEEEvT0_S3_ll21rocsparse_index_base_PKT1_PKS3_PS5_16rocsparse_order_,"axG",@progbits,_ZN9rocsparseL20coo2dense_aos_kernelILj512El21rocsparse_complex_numIdEEEvT0_S3_ll21rocsparse_index_base_PKT1_PKS3_PS5_16rocsparse_order_,comdat
	.globl	_ZN9rocsparseL20coo2dense_aos_kernelILj512El21rocsparse_complex_numIdEEEvT0_S3_ll21rocsparse_index_base_PKT1_PKS3_PS5_16rocsparse_order_ ; -- Begin function _ZN9rocsparseL20coo2dense_aos_kernelILj512El21rocsparse_complex_numIdEEEvT0_S3_ll21rocsparse_index_base_PKT1_PKS3_PS5_16rocsparse_order_
	.p2align	8
	.type	_ZN9rocsparseL20coo2dense_aos_kernelILj512El21rocsparse_complex_numIdEEEvT0_S3_ll21rocsparse_index_base_PKT1_PKS3_PS5_16rocsparse_order_,@function
_ZN9rocsparseL20coo2dense_aos_kernelILj512El21rocsparse_complex_numIdEEEvT0_S3_ll21rocsparse_index_base_PKT1_PKS3_PS5_16rocsparse_order_: ; @_ZN9rocsparseL20coo2dense_aos_kernelILj512El21rocsparse_complex_numIdEEEvT0_S3_ll21rocsparse_index_base_PKT1_PKS3_PS5_16rocsparse_order_
; %bb.0:
	s_load_dwordx4 s[8:11], s[4:5], 0x10
	v_lshl_or_b32 v2, s6, 9, v0
	v_mov_b32_e32 v3, 0
	s_waitcnt lgkmcnt(0)
	v_cmp_gt_i64_e32 vcc, s[8:9], v[2:3]
	s_and_saveexec_b64 s[0:1], vcc
	s_cbranch_execz .LBB9_3
; %bb.1:
	s_load_dwordx2 s[2:3], s[4:5], 0x38
	s_load_dword s0, s[4:5], 0x40
	s_load_dword s1, s[4:5], 0x48
	;; [unrolled: 1-line block ×3, first 2 shown]
	s_load_dwordx4 s[12:15], s[4:5], 0x28
	s_mov_b32 s17, 0
	v_lshlrev_b32_e32 v0, 1, v0
	v_pk_mov_b32 v[6:7], v[2:3], v[2:3] op_sel:[0,1]
	s_waitcnt lgkmcnt(0)
	s_lshl_b32 s16, s1, 9
	s_cmp_eq_u32 s0, 1
	s_cselect_b64 vcc, -1, 0
	v_add_u32_e32 v4, s16, v2
	v_lshl_or_b32 v2, s6, 10, v0
	s_lshl_b32 s6, s1, 10
	s_mov_b64 s[4:5], 0
	v_mov_b32_e32 v0, s15
	v_mov_b32_e32 v1, s17
	;; [unrolled: 1-line block ×4, first 2 shown]
.LBB9_2:                                ; =>This Inner Loop Header: Depth=1
	v_lshlrev_b64 v[10:11], 3, v[2:3]
	v_add_co_u32_e64 v10, s[0:1], s14, v10
	v_addc_co_u32_e64 v11, s[0:1], v0, v11, s[0:1]
	global_load_dwordx4 v[10:13], v[10:11], off
	v_lshlrev_b64 v[6:7], 4, v[6:7]
	v_add_co_u32_e64 v6, s[0:1], s12, v6
	v_addc_co_u32_e64 v7, s[0:1], v8, v7, s[0:1]
	global_load_dwordx4 v[14:17], v[6:7], off
	v_mov_b32_e32 v5, v3
	v_cmp_le_u64_e64 s[0:1], s[8:9], v[4:5]
	v_pk_mov_b32 v[6:7], v[4:5], v[4:5] op_sel:[0,1]
	s_or_b64 s[4:5], s[0:1], s[4:5]
	v_add_u32_e32 v2, s6, v2
	v_add_u32_e32 v4, s16, v4
	s_waitcnt vmcnt(1)
	v_subrev_co_u32_e64 v5, s[0:1], s7, v10
	v_subb_co_u32_e64 v10, s[0:1], v11, v1, s[0:1]
	v_subrev_co_u32_e64 v12, s[0:1], s7, v12
	v_subb_co_u32_e64 v11, s[0:1], v13, v1, s[0:1]
	v_cndmask_b32_e32 v13, v5, v12, vcc
	v_cndmask_b32_e32 v18, v10, v11, vcc
	;; [unrolled: 1-line block ×4, first 2 shown]
	v_mul_lo_u32 v5, v18, s10
	v_mul_lo_u32 v18, v13, s11
	v_mad_u64_u32 v[12:13], s[0:1], v13, s10, 0
	v_add3_u32 v13, v13, v18, v5
	v_lshlrev_b64 v[12:13], 4, v[12:13]
	v_add_co_u32_e64 v5, s[0:1], s2, v12
	v_lshlrev_b64 v[10:11], 4, v[10:11]
	v_addc_co_u32_e64 v12, s[0:1], v9, v13, s[0:1]
	v_add_co_u32_e64 v10, s[0:1], v5, v10
	v_addc_co_u32_e64 v11, s[0:1], v12, v11, s[0:1]
	s_waitcnt vmcnt(0)
	global_store_dwordx4 v[10:11], v[14:17], off
	s_andn2_b64 exec, exec, s[4:5]
	s_cbranch_execnz .LBB9_2
.LBB9_3:
	s_endpgm
	.section	.rodata,"a",@progbits
	.p2align	6, 0x0
	.amdhsa_kernel _ZN9rocsparseL20coo2dense_aos_kernelILj512El21rocsparse_complex_numIdEEEvT0_S3_ll21rocsparse_index_base_PKT1_PKS3_PS5_16rocsparse_order_
		.amdhsa_group_segment_fixed_size 0
		.amdhsa_private_segment_fixed_size 0
		.amdhsa_kernarg_size 328
		.amdhsa_user_sgpr_count 6
		.amdhsa_user_sgpr_private_segment_buffer 1
		.amdhsa_user_sgpr_dispatch_ptr 0
		.amdhsa_user_sgpr_queue_ptr 0
		.amdhsa_user_sgpr_kernarg_segment_ptr 1
		.amdhsa_user_sgpr_dispatch_id 0
		.amdhsa_user_sgpr_flat_scratch_init 0
		.amdhsa_user_sgpr_kernarg_preload_length 0
		.amdhsa_user_sgpr_kernarg_preload_offset 0
		.amdhsa_user_sgpr_private_segment_size 0
		.amdhsa_uses_dynamic_stack 0
		.amdhsa_system_sgpr_private_segment_wavefront_offset 0
		.amdhsa_system_sgpr_workgroup_id_x 1
		.amdhsa_system_sgpr_workgroup_id_y 0
		.amdhsa_system_sgpr_workgroup_id_z 0
		.amdhsa_system_sgpr_workgroup_info 0
		.amdhsa_system_vgpr_workitem_id 0
		.amdhsa_next_free_vgpr 19
		.amdhsa_next_free_sgpr 18
		.amdhsa_accum_offset 20
		.amdhsa_reserve_vcc 1
		.amdhsa_reserve_flat_scratch 0
		.amdhsa_float_round_mode_32 0
		.amdhsa_float_round_mode_16_64 0
		.amdhsa_float_denorm_mode_32 3
		.amdhsa_float_denorm_mode_16_64 3
		.amdhsa_dx10_clamp 1
		.amdhsa_ieee_mode 1
		.amdhsa_fp16_overflow 0
		.amdhsa_tg_split 0
		.amdhsa_exception_fp_ieee_invalid_op 0
		.amdhsa_exception_fp_denorm_src 0
		.amdhsa_exception_fp_ieee_div_zero 0
		.amdhsa_exception_fp_ieee_overflow 0
		.amdhsa_exception_fp_ieee_underflow 0
		.amdhsa_exception_fp_ieee_inexact 0
		.amdhsa_exception_int_div_zero 0
	.end_amdhsa_kernel
	.section	.text._ZN9rocsparseL20coo2dense_aos_kernelILj512El21rocsparse_complex_numIdEEEvT0_S3_ll21rocsparse_index_base_PKT1_PKS3_PS5_16rocsparse_order_,"axG",@progbits,_ZN9rocsparseL20coo2dense_aos_kernelILj512El21rocsparse_complex_numIdEEEvT0_S3_ll21rocsparse_index_base_PKT1_PKS3_PS5_16rocsparse_order_,comdat
.Lfunc_end9:
	.size	_ZN9rocsparseL20coo2dense_aos_kernelILj512El21rocsparse_complex_numIdEEEvT0_S3_ll21rocsparse_index_base_PKT1_PKS3_PS5_16rocsparse_order_, .Lfunc_end9-_ZN9rocsparseL20coo2dense_aos_kernelILj512El21rocsparse_complex_numIdEEEvT0_S3_ll21rocsparse_index_base_PKT1_PKS3_PS5_16rocsparse_order_
                                        ; -- End function
	.section	.AMDGPU.csdata,"",@progbits
; Kernel info:
; codeLenInByte = 396
; NumSgprs: 22
; NumVgprs: 19
; NumAgprs: 0
; TotalNumVgprs: 19
; ScratchSize: 0
; MemoryBound: 0
; FloatMode: 240
; IeeeMode: 1
; LDSByteSize: 0 bytes/workgroup (compile time only)
; SGPRBlocks: 2
; VGPRBlocks: 2
; NumSGPRsForWavesPerEU: 22
; NumVGPRsForWavesPerEU: 19
; AccumOffset: 20
; Occupancy: 8
; WaveLimiterHint : 1
; COMPUTE_PGM_RSRC2:SCRATCH_EN: 0
; COMPUTE_PGM_RSRC2:USER_SGPR: 6
; COMPUTE_PGM_RSRC2:TRAP_HANDLER: 0
; COMPUTE_PGM_RSRC2:TGID_X_EN: 1
; COMPUTE_PGM_RSRC2:TGID_Y_EN: 0
; COMPUTE_PGM_RSRC2:TGID_Z_EN: 0
; COMPUTE_PGM_RSRC2:TIDIG_COMP_CNT: 0
; COMPUTE_PGM_RSRC3_GFX90A:ACCUM_OFFSET: 4
; COMPUTE_PGM_RSRC3_GFX90A:TG_SPLIT: 0
	.text
	.p2alignl 6, 3212836864
	.fill 256, 4, 3212836864
	.type	__hip_cuid_5674489d7d1c5371,@object ; @__hip_cuid_5674489d7d1c5371
	.section	.bss,"aw",@nobits
	.globl	__hip_cuid_5674489d7d1c5371
__hip_cuid_5674489d7d1c5371:
	.byte	0                               ; 0x0
	.size	__hip_cuid_5674489d7d1c5371, 1

	.ident	"AMD clang version 19.0.0git (https://github.com/RadeonOpenCompute/llvm-project roc-6.4.0 25133 c7fe45cf4b819c5991fe208aaa96edf142730f1d)"
	.section	".note.GNU-stack","",@progbits
	.addrsig
	.addrsig_sym __hip_cuid_5674489d7d1c5371
	.amdgpu_metadata
---
amdhsa.kernels:
  - .agpr_count:     0
    .args:
      - .offset:         0
        .size:           4
        .value_kind:     by_value
      - .offset:         4
        .size:           4
        .value_kind:     by_value
      - .offset:         8
        .size:           8
        .value_kind:     by_value
      - .offset:         16
        .size:           8
        .value_kind:     by_value
      - .offset:         24
        .size:           4
        .value_kind:     by_value
      - .address_space:  global
        .offset:         32
        .size:           8
        .value_kind:     global_buffer
      - .address_space:  global
        .offset:         40
        .size:           8
        .value_kind:     global_buffer
      - .address_space:  global
        .offset:         48
        .size:           8
        .value_kind:     global_buffer
      - .offset:         56
        .size:           4
        .value_kind:     by_value
      - .offset:         64
        .size:           4
        .value_kind:     hidden_block_count_x
      - .offset:         68
        .size:           4
        .value_kind:     hidden_block_count_y
      - .offset:         72
        .size:           4
        .value_kind:     hidden_block_count_z
      - .offset:         76
        .size:           2
        .value_kind:     hidden_group_size_x
      - .offset:         78
        .size:           2
        .value_kind:     hidden_group_size_y
      - .offset:         80
        .size:           2
        .value_kind:     hidden_group_size_z
      - .offset:         82
        .size:           2
        .value_kind:     hidden_remainder_x
      - .offset:         84
        .size:           2
        .value_kind:     hidden_remainder_y
      - .offset:         86
        .size:           2
        .value_kind:     hidden_remainder_z
      - .offset:         104
        .size:           8
        .value_kind:     hidden_global_offset_x
      - .offset:         112
        .size:           8
        .value_kind:     hidden_global_offset_y
      - .offset:         120
        .size:           8
        .value_kind:     hidden_global_offset_z
      - .offset:         128
        .size:           2
        .value_kind:     hidden_grid_dims
    .group_segment_fixed_size: 0
    .kernarg_segment_align: 8
    .kernarg_segment_size: 320
    .language:       OpenCL C
    .language_version:
      - 2
      - 0
    .max_flat_workgroup_size: 512
    .name:           _ZN9rocsparseL20coo2dense_aos_kernelILj512EiDF16_EEvT0_S1_ll21rocsparse_index_base_PKT1_PKS1_PS3_16rocsparse_order_
    .private_segment_fixed_size: 0
    .sgpr_count:     21
    .sgpr_spill_count: 0
    .symbol:         _ZN9rocsparseL20coo2dense_aos_kernelILj512EiDF16_EEvT0_S1_ll21rocsparse_index_base_PKT1_PKS1_PS3_16rocsparse_order_.kd
    .uniform_work_group_size: 1
    .uses_dynamic_stack: false
    .vgpr_count:     15
    .vgpr_spill_count: 0
    .wavefront_size: 64
  - .agpr_count:     0
    .args:
      - .offset:         0
        .size:           4
        .value_kind:     by_value
      - .offset:         4
        .size:           4
        .value_kind:     by_value
      - .offset:         8
        .size:           8
        .value_kind:     by_value
      - .offset:         16
        .size:           8
        .value_kind:     by_value
      - .offset:         24
        .size:           4
        .value_kind:     by_value
      - .address_space:  global
        .offset:         32
        .size:           8
        .value_kind:     global_buffer
      - .address_space:  global
        .offset:         40
        .size:           8
        .value_kind:     global_buffer
      - .address_space:  global
        .offset:         48
        .size:           8
        .value_kind:     global_buffer
      - .offset:         56
        .size:           4
        .value_kind:     by_value
      - .offset:         64
        .size:           4
        .value_kind:     hidden_block_count_x
      - .offset:         68
        .size:           4
        .value_kind:     hidden_block_count_y
      - .offset:         72
        .size:           4
        .value_kind:     hidden_block_count_z
      - .offset:         76
        .size:           2
        .value_kind:     hidden_group_size_x
      - .offset:         78
        .size:           2
        .value_kind:     hidden_group_size_y
      - .offset:         80
        .size:           2
        .value_kind:     hidden_group_size_z
      - .offset:         82
        .size:           2
        .value_kind:     hidden_remainder_x
      - .offset:         84
        .size:           2
        .value_kind:     hidden_remainder_y
      - .offset:         86
        .size:           2
        .value_kind:     hidden_remainder_z
      - .offset:         104
        .size:           8
        .value_kind:     hidden_global_offset_x
      - .offset:         112
        .size:           8
        .value_kind:     hidden_global_offset_y
      - .offset:         120
        .size:           8
        .value_kind:     hidden_global_offset_z
      - .offset:         128
        .size:           2
        .value_kind:     hidden_grid_dims
    .group_segment_fixed_size: 0
    .kernarg_segment_align: 8
    .kernarg_segment_size: 320
    .language:       OpenCL C
    .language_version:
      - 2
      - 0
    .max_flat_workgroup_size: 512
    .name:           _ZN9rocsparseL20coo2dense_aos_kernelILj512EifEEvT0_S1_ll21rocsparse_index_base_PKT1_PKS1_PS3_16rocsparse_order_
    .private_segment_fixed_size: 0
    .sgpr_count:     21
    .sgpr_spill_count: 0
    .symbol:         _ZN9rocsparseL20coo2dense_aos_kernelILj512EifEEvT0_S1_ll21rocsparse_index_base_PKT1_PKS1_PS3_16rocsparse_order_.kd
    .uniform_work_group_size: 1
    .uses_dynamic_stack: false
    .vgpr_count:     15
    .vgpr_spill_count: 0
    .wavefront_size: 64
  - .agpr_count:     0
    .args:
      - .offset:         0
        .size:           4
        .value_kind:     by_value
      - .offset:         4
        .size:           4
        .value_kind:     by_value
      - .offset:         8
        .size:           8
        .value_kind:     by_value
      - .offset:         16
        .size:           8
        .value_kind:     by_value
      - .offset:         24
        .size:           4
        .value_kind:     by_value
      - .address_space:  global
        .offset:         32
        .size:           8
        .value_kind:     global_buffer
      - .address_space:  global
        .offset:         40
        .size:           8
        .value_kind:     global_buffer
      - .address_space:  global
        .offset:         48
        .size:           8
        .value_kind:     global_buffer
      - .offset:         56
        .size:           4
        .value_kind:     by_value
      - .offset:         64
        .size:           4
        .value_kind:     hidden_block_count_x
      - .offset:         68
        .size:           4
        .value_kind:     hidden_block_count_y
      - .offset:         72
        .size:           4
        .value_kind:     hidden_block_count_z
      - .offset:         76
        .size:           2
        .value_kind:     hidden_group_size_x
      - .offset:         78
        .size:           2
        .value_kind:     hidden_group_size_y
      - .offset:         80
        .size:           2
        .value_kind:     hidden_group_size_z
      - .offset:         82
        .size:           2
        .value_kind:     hidden_remainder_x
      - .offset:         84
        .size:           2
        .value_kind:     hidden_remainder_y
      - .offset:         86
        .size:           2
        .value_kind:     hidden_remainder_z
      - .offset:         104
        .size:           8
        .value_kind:     hidden_global_offset_x
      - .offset:         112
        .size:           8
        .value_kind:     hidden_global_offset_y
      - .offset:         120
        .size:           8
        .value_kind:     hidden_global_offset_z
      - .offset:         128
        .size:           2
        .value_kind:     hidden_grid_dims
    .group_segment_fixed_size: 0
    .kernarg_segment_align: 8
    .kernarg_segment_size: 320
    .language:       OpenCL C
    .language_version:
      - 2
      - 0
    .max_flat_workgroup_size: 512
    .name:           _ZN9rocsparseL20coo2dense_aos_kernelILj512EidEEvT0_S1_ll21rocsparse_index_base_PKT1_PKS1_PS3_16rocsparse_order_
    .private_segment_fixed_size: 0
    .sgpr_count:     21
    .sgpr_spill_count: 0
    .symbol:         _ZN9rocsparseL20coo2dense_aos_kernelILj512EidEEvT0_S1_ll21rocsparse_index_base_PKT1_PKS1_PS3_16rocsparse_order_.kd
    .uniform_work_group_size: 1
    .uses_dynamic_stack: false
    .vgpr_count:     16
    .vgpr_spill_count: 0
    .wavefront_size: 64
  - .agpr_count:     0
    .args:
      - .offset:         0
        .size:           4
        .value_kind:     by_value
      - .offset:         4
        .size:           4
        .value_kind:     by_value
      - .offset:         8
        .size:           8
        .value_kind:     by_value
      - .offset:         16
        .size:           8
        .value_kind:     by_value
      - .offset:         24
        .size:           4
        .value_kind:     by_value
      - .address_space:  global
        .offset:         32
        .size:           8
        .value_kind:     global_buffer
      - .address_space:  global
        .offset:         40
        .size:           8
        .value_kind:     global_buffer
      - .address_space:  global
        .offset:         48
        .size:           8
        .value_kind:     global_buffer
      - .offset:         56
        .size:           4
        .value_kind:     by_value
      - .offset:         64
        .size:           4
        .value_kind:     hidden_block_count_x
      - .offset:         68
        .size:           4
        .value_kind:     hidden_block_count_y
      - .offset:         72
        .size:           4
        .value_kind:     hidden_block_count_z
      - .offset:         76
        .size:           2
        .value_kind:     hidden_group_size_x
      - .offset:         78
        .size:           2
        .value_kind:     hidden_group_size_y
      - .offset:         80
        .size:           2
        .value_kind:     hidden_group_size_z
      - .offset:         82
        .size:           2
        .value_kind:     hidden_remainder_x
      - .offset:         84
        .size:           2
        .value_kind:     hidden_remainder_y
      - .offset:         86
        .size:           2
        .value_kind:     hidden_remainder_z
      - .offset:         104
        .size:           8
        .value_kind:     hidden_global_offset_x
      - .offset:         112
        .size:           8
        .value_kind:     hidden_global_offset_y
      - .offset:         120
        .size:           8
        .value_kind:     hidden_global_offset_z
      - .offset:         128
        .size:           2
        .value_kind:     hidden_grid_dims
    .group_segment_fixed_size: 0
    .kernarg_segment_align: 8
    .kernarg_segment_size: 320
    .language:       OpenCL C
    .language_version:
      - 2
      - 0
    .max_flat_workgroup_size: 512
    .name:           _ZN9rocsparseL20coo2dense_aos_kernelILj512Ei21rocsparse_complex_numIfEEEvT0_S3_ll21rocsparse_index_base_PKT1_PKS3_PS5_16rocsparse_order_
    .private_segment_fixed_size: 0
    .sgpr_count:     21
    .sgpr_spill_count: 0
    .symbol:         _ZN9rocsparseL20coo2dense_aos_kernelILj512Ei21rocsparse_complex_numIfEEEvT0_S3_ll21rocsparse_index_base_PKT1_PKS3_PS5_16rocsparse_order_.kd
    .uniform_work_group_size: 1
    .uses_dynamic_stack: false
    .vgpr_count:     16
    .vgpr_spill_count: 0
    .wavefront_size: 64
  - .agpr_count:     0
    .args:
      - .offset:         0
        .size:           4
        .value_kind:     by_value
      - .offset:         4
        .size:           4
        .value_kind:     by_value
      - .offset:         8
        .size:           8
        .value_kind:     by_value
      - .offset:         16
        .size:           8
        .value_kind:     by_value
      - .offset:         24
        .size:           4
        .value_kind:     by_value
      - .address_space:  global
        .offset:         32
        .size:           8
        .value_kind:     global_buffer
      - .address_space:  global
        .offset:         40
        .size:           8
        .value_kind:     global_buffer
      - .address_space:  global
        .offset:         48
        .size:           8
        .value_kind:     global_buffer
      - .offset:         56
        .size:           4
        .value_kind:     by_value
      - .offset:         64
        .size:           4
        .value_kind:     hidden_block_count_x
      - .offset:         68
        .size:           4
        .value_kind:     hidden_block_count_y
      - .offset:         72
        .size:           4
        .value_kind:     hidden_block_count_z
      - .offset:         76
        .size:           2
        .value_kind:     hidden_group_size_x
      - .offset:         78
        .size:           2
        .value_kind:     hidden_group_size_y
      - .offset:         80
        .size:           2
        .value_kind:     hidden_group_size_z
      - .offset:         82
        .size:           2
        .value_kind:     hidden_remainder_x
      - .offset:         84
        .size:           2
        .value_kind:     hidden_remainder_y
      - .offset:         86
        .size:           2
        .value_kind:     hidden_remainder_z
      - .offset:         104
        .size:           8
        .value_kind:     hidden_global_offset_x
      - .offset:         112
        .size:           8
        .value_kind:     hidden_global_offset_y
      - .offset:         120
        .size:           8
        .value_kind:     hidden_global_offset_z
      - .offset:         128
        .size:           2
        .value_kind:     hidden_grid_dims
    .group_segment_fixed_size: 0
    .kernarg_segment_align: 8
    .kernarg_segment_size: 320
    .language:       OpenCL C
    .language_version:
      - 2
      - 0
    .max_flat_workgroup_size: 512
    .name:           _ZN9rocsparseL20coo2dense_aos_kernelILj512Ei21rocsparse_complex_numIdEEEvT0_S3_ll21rocsparse_index_base_PKT1_PKS3_PS5_16rocsparse_order_
    .private_segment_fixed_size: 0
    .sgpr_count:     21
    .sgpr_spill_count: 0
    .symbol:         _ZN9rocsparseL20coo2dense_aos_kernelILj512Ei21rocsparse_complex_numIdEEEvT0_S3_ll21rocsparse_index_base_PKT1_PKS3_PS5_16rocsparse_order_.kd
    .uniform_work_group_size: 1
    .uses_dynamic_stack: false
    .vgpr_count:     18
    .vgpr_spill_count: 0
    .wavefront_size: 64
  - .agpr_count:     0
    .args:
      - .offset:         0
        .size:           8
        .value_kind:     by_value
      - .offset:         8
        .size:           8
        .value_kind:     by_value
      - .offset:         16
        .size:           8
        .value_kind:     by_value
      - .offset:         24
        .size:           8
        .value_kind:     by_value
      - .offset:         32
        .size:           4
        .value_kind:     by_value
      - .address_space:  global
        .offset:         40
        .size:           8
        .value_kind:     global_buffer
      - .address_space:  global
        .offset:         48
        .size:           8
        .value_kind:     global_buffer
      - .address_space:  global
        .offset:         56
        .size:           8
        .value_kind:     global_buffer
      - .offset:         64
        .size:           4
        .value_kind:     by_value
      - .offset:         72
        .size:           4
        .value_kind:     hidden_block_count_x
      - .offset:         76
        .size:           4
        .value_kind:     hidden_block_count_y
      - .offset:         80
        .size:           4
        .value_kind:     hidden_block_count_z
      - .offset:         84
        .size:           2
        .value_kind:     hidden_group_size_x
      - .offset:         86
        .size:           2
        .value_kind:     hidden_group_size_y
      - .offset:         88
        .size:           2
        .value_kind:     hidden_group_size_z
      - .offset:         90
        .size:           2
        .value_kind:     hidden_remainder_x
      - .offset:         92
        .size:           2
        .value_kind:     hidden_remainder_y
      - .offset:         94
        .size:           2
        .value_kind:     hidden_remainder_z
      - .offset:         112
        .size:           8
        .value_kind:     hidden_global_offset_x
      - .offset:         120
        .size:           8
        .value_kind:     hidden_global_offset_y
      - .offset:         128
        .size:           8
        .value_kind:     hidden_global_offset_z
      - .offset:         136
        .size:           2
        .value_kind:     hidden_grid_dims
    .group_segment_fixed_size: 0
    .kernarg_segment_align: 8
    .kernarg_segment_size: 328
    .language:       OpenCL C
    .language_version:
      - 2
      - 0
    .max_flat_workgroup_size: 512
    .name:           _ZN9rocsparseL20coo2dense_aos_kernelILj512ElDF16_EEvT0_S1_ll21rocsparse_index_base_PKT1_PKS1_PS3_16rocsparse_order_
    .private_segment_fixed_size: 0
    .sgpr_count:     22
    .sgpr_spill_count: 0
    .symbol:         _ZN9rocsparseL20coo2dense_aos_kernelILj512ElDF16_EEvT0_S1_ll21rocsparse_index_base_PKT1_PKS1_PS3_16rocsparse_order_.kd
    .uniform_work_group_size: 1
    .uses_dynamic_stack: false
    .vgpr_count:     16
    .vgpr_spill_count: 0
    .wavefront_size: 64
  - .agpr_count:     0
    .args:
      - .offset:         0
        .size:           8
        .value_kind:     by_value
      - .offset:         8
        .size:           8
        .value_kind:     by_value
      - .offset:         16
        .size:           8
        .value_kind:     by_value
      - .offset:         24
        .size:           8
        .value_kind:     by_value
      - .offset:         32
        .size:           4
        .value_kind:     by_value
      - .address_space:  global
        .offset:         40
        .size:           8
        .value_kind:     global_buffer
      - .address_space:  global
        .offset:         48
        .size:           8
        .value_kind:     global_buffer
      - .address_space:  global
        .offset:         56
        .size:           8
        .value_kind:     global_buffer
      - .offset:         64
        .size:           4
        .value_kind:     by_value
      - .offset:         72
        .size:           4
        .value_kind:     hidden_block_count_x
      - .offset:         76
        .size:           4
        .value_kind:     hidden_block_count_y
      - .offset:         80
        .size:           4
        .value_kind:     hidden_block_count_z
      - .offset:         84
        .size:           2
        .value_kind:     hidden_group_size_x
      - .offset:         86
        .size:           2
        .value_kind:     hidden_group_size_y
      - .offset:         88
        .size:           2
        .value_kind:     hidden_group_size_z
      - .offset:         90
        .size:           2
        .value_kind:     hidden_remainder_x
      - .offset:         92
        .size:           2
        .value_kind:     hidden_remainder_y
      - .offset:         94
        .size:           2
        .value_kind:     hidden_remainder_z
      - .offset:         112
        .size:           8
        .value_kind:     hidden_global_offset_x
      - .offset:         120
        .size:           8
        .value_kind:     hidden_global_offset_y
      - .offset:         128
        .size:           8
        .value_kind:     hidden_global_offset_z
      - .offset:         136
        .size:           2
        .value_kind:     hidden_grid_dims
    .group_segment_fixed_size: 0
    .kernarg_segment_align: 8
    .kernarg_segment_size: 328
    .language:       OpenCL C
    .language_version:
      - 2
      - 0
    .max_flat_workgroup_size: 512
    .name:           _ZN9rocsparseL20coo2dense_aos_kernelILj512ElfEEvT0_S1_ll21rocsparse_index_base_PKT1_PKS1_PS3_16rocsparse_order_
    .private_segment_fixed_size: 0
    .sgpr_count:     22
    .sgpr_spill_count: 0
    .symbol:         _ZN9rocsparseL20coo2dense_aos_kernelILj512ElfEEvT0_S1_ll21rocsparse_index_base_PKT1_PKS1_PS3_16rocsparse_order_.kd
    .uniform_work_group_size: 1
    .uses_dynamic_stack: false
    .vgpr_count:     16
    .vgpr_spill_count: 0
    .wavefront_size: 64
  - .agpr_count:     0
    .args:
      - .offset:         0
        .size:           8
        .value_kind:     by_value
      - .offset:         8
        .size:           8
        .value_kind:     by_value
      - .offset:         16
        .size:           8
        .value_kind:     by_value
      - .offset:         24
        .size:           8
        .value_kind:     by_value
      - .offset:         32
        .size:           4
        .value_kind:     by_value
      - .address_space:  global
        .offset:         40
        .size:           8
        .value_kind:     global_buffer
      - .address_space:  global
        .offset:         48
        .size:           8
        .value_kind:     global_buffer
      - .address_space:  global
        .offset:         56
        .size:           8
        .value_kind:     global_buffer
      - .offset:         64
        .size:           4
        .value_kind:     by_value
      - .offset:         72
        .size:           4
        .value_kind:     hidden_block_count_x
      - .offset:         76
        .size:           4
        .value_kind:     hidden_block_count_y
      - .offset:         80
        .size:           4
        .value_kind:     hidden_block_count_z
      - .offset:         84
        .size:           2
        .value_kind:     hidden_group_size_x
      - .offset:         86
        .size:           2
        .value_kind:     hidden_group_size_y
      - .offset:         88
        .size:           2
        .value_kind:     hidden_group_size_z
      - .offset:         90
        .size:           2
        .value_kind:     hidden_remainder_x
      - .offset:         92
        .size:           2
        .value_kind:     hidden_remainder_y
      - .offset:         94
        .size:           2
        .value_kind:     hidden_remainder_z
      - .offset:         112
        .size:           8
        .value_kind:     hidden_global_offset_x
      - .offset:         120
        .size:           8
        .value_kind:     hidden_global_offset_y
      - .offset:         128
        .size:           8
        .value_kind:     hidden_global_offset_z
      - .offset:         136
        .size:           2
        .value_kind:     hidden_grid_dims
    .group_segment_fixed_size: 0
    .kernarg_segment_align: 8
    .kernarg_segment_size: 328
    .language:       OpenCL C
    .language_version:
      - 2
      - 0
    .max_flat_workgroup_size: 512
    .name:           _ZN9rocsparseL20coo2dense_aos_kernelILj512EldEEvT0_S1_ll21rocsparse_index_base_PKT1_PKS1_PS3_16rocsparse_order_
    .private_segment_fixed_size: 0
    .sgpr_count:     22
    .sgpr_spill_count: 0
    .symbol:         _ZN9rocsparseL20coo2dense_aos_kernelILj512EldEEvT0_S1_ll21rocsparse_index_base_PKT1_PKS1_PS3_16rocsparse_order_.kd
    .uniform_work_group_size: 1
    .uses_dynamic_stack: false
    .vgpr_count:     17
    .vgpr_spill_count: 0
    .wavefront_size: 64
  - .agpr_count:     0
    .args:
      - .offset:         0
        .size:           8
        .value_kind:     by_value
      - .offset:         8
        .size:           8
        .value_kind:     by_value
      - .offset:         16
        .size:           8
        .value_kind:     by_value
      - .offset:         24
        .size:           8
        .value_kind:     by_value
      - .offset:         32
        .size:           4
        .value_kind:     by_value
      - .address_space:  global
        .offset:         40
        .size:           8
        .value_kind:     global_buffer
      - .address_space:  global
        .offset:         48
        .size:           8
        .value_kind:     global_buffer
      - .address_space:  global
        .offset:         56
        .size:           8
        .value_kind:     global_buffer
      - .offset:         64
        .size:           4
        .value_kind:     by_value
      - .offset:         72
        .size:           4
        .value_kind:     hidden_block_count_x
      - .offset:         76
        .size:           4
        .value_kind:     hidden_block_count_y
      - .offset:         80
        .size:           4
        .value_kind:     hidden_block_count_z
      - .offset:         84
        .size:           2
        .value_kind:     hidden_group_size_x
      - .offset:         86
        .size:           2
        .value_kind:     hidden_group_size_y
      - .offset:         88
        .size:           2
        .value_kind:     hidden_group_size_z
      - .offset:         90
        .size:           2
        .value_kind:     hidden_remainder_x
      - .offset:         92
        .size:           2
        .value_kind:     hidden_remainder_y
      - .offset:         94
        .size:           2
        .value_kind:     hidden_remainder_z
      - .offset:         112
        .size:           8
        .value_kind:     hidden_global_offset_x
      - .offset:         120
        .size:           8
        .value_kind:     hidden_global_offset_y
      - .offset:         128
        .size:           8
        .value_kind:     hidden_global_offset_z
      - .offset:         136
        .size:           2
        .value_kind:     hidden_grid_dims
    .group_segment_fixed_size: 0
    .kernarg_segment_align: 8
    .kernarg_segment_size: 328
    .language:       OpenCL C
    .language_version:
      - 2
      - 0
    .max_flat_workgroup_size: 512
    .name:           _ZN9rocsparseL20coo2dense_aos_kernelILj512El21rocsparse_complex_numIfEEEvT0_S3_ll21rocsparse_index_base_PKT1_PKS3_PS5_16rocsparse_order_
    .private_segment_fixed_size: 0
    .sgpr_count:     22
    .sgpr_spill_count: 0
    .symbol:         _ZN9rocsparseL20coo2dense_aos_kernelILj512El21rocsparse_complex_numIfEEEvT0_S3_ll21rocsparse_index_base_PKT1_PKS3_PS5_16rocsparse_order_.kd
    .uniform_work_group_size: 1
    .uses_dynamic_stack: false
    .vgpr_count:     17
    .vgpr_spill_count: 0
    .wavefront_size: 64
  - .agpr_count:     0
    .args:
      - .offset:         0
        .size:           8
        .value_kind:     by_value
      - .offset:         8
        .size:           8
        .value_kind:     by_value
      - .offset:         16
        .size:           8
        .value_kind:     by_value
      - .offset:         24
        .size:           8
        .value_kind:     by_value
      - .offset:         32
        .size:           4
        .value_kind:     by_value
      - .address_space:  global
        .offset:         40
        .size:           8
        .value_kind:     global_buffer
      - .address_space:  global
        .offset:         48
        .size:           8
        .value_kind:     global_buffer
      - .address_space:  global
        .offset:         56
        .size:           8
        .value_kind:     global_buffer
      - .offset:         64
        .size:           4
        .value_kind:     by_value
      - .offset:         72
        .size:           4
        .value_kind:     hidden_block_count_x
      - .offset:         76
        .size:           4
        .value_kind:     hidden_block_count_y
      - .offset:         80
        .size:           4
        .value_kind:     hidden_block_count_z
      - .offset:         84
        .size:           2
        .value_kind:     hidden_group_size_x
      - .offset:         86
        .size:           2
        .value_kind:     hidden_group_size_y
      - .offset:         88
        .size:           2
        .value_kind:     hidden_group_size_z
      - .offset:         90
        .size:           2
        .value_kind:     hidden_remainder_x
      - .offset:         92
        .size:           2
        .value_kind:     hidden_remainder_y
      - .offset:         94
        .size:           2
        .value_kind:     hidden_remainder_z
      - .offset:         112
        .size:           8
        .value_kind:     hidden_global_offset_x
      - .offset:         120
        .size:           8
        .value_kind:     hidden_global_offset_y
      - .offset:         128
        .size:           8
        .value_kind:     hidden_global_offset_z
      - .offset:         136
        .size:           2
        .value_kind:     hidden_grid_dims
    .group_segment_fixed_size: 0
    .kernarg_segment_align: 8
    .kernarg_segment_size: 328
    .language:       OpenCL C
    .language_version:
      - 2
      - 0
    .max_flat_workgroup_size: 512
    .name:           _ZN9rocsparseL20coo2dense_aos_kernelILj512El21rocsparse_complex_numIdEEEvT0_S3_ll21rocsparse_index_base_PKT1_PKS3_PS5_16rocsparse_order_
    .private_segment_fixed_size: 0
    .sgpr_count:     22
    .sgpr_spill_count: 0
    .symbol:         _ZN9rocsparseL20coo2dense_aos_kernelILj512El21rocsparse_complex_numIdEEEvT0_S3_ll21rocsparse_index_base_PKT1_PKS3_PS5_16rocsparse_order_.kd
    .uniform_work_group_size: 1
    .uses_dynamic_stack: false
    .vgpr_count:     19
    .vgpr_spill_count: 0
    .wavefront_size: 64
amdhsa.target:   amdgcn-amd-amdhsa--gfx90a
amdhsa.version:
  - 1
  - 2
...

	.end_amdgpu_metadata
